;; amdgpu-corpus repo=ROCm/rocFFT kind=compiled arch=gfx1100 opt=O3
	.text
	.amdgcn_target "amdgcn-amd-amdhsa--gfx1100"
	.amdhsa_code_object_version 6
	.protected	bluestein_single_back_len1960_dim1_half_op_CI_CI ; -- Begin function bluestein_single_back_len1960_dim1_half_op_CI_CI
	.globl	bluestein_single_back_len1960_dim1_half_op_CI_CI
	.p2align	8
	.type	bluestein_single_back_len1960_dim1_half_op_CI_CI,@function
bluestein_single_back_len1960_dim1_half_op_CI_CI: ; @bluestein_single_back_len1960_dim1_half_op_CI_CI
; %bb.0:
	s_load_b128 s[16:19], s[0:1], 0x28
	v_mul_u32_u24_e32 v1, 0x493, v0
	s_mov_b32 s2, exec_lo
	v_mov_b32_e32 v55, 0
	s_delay_alu instid0(VALU_DEP_2) | instskip(NEXT) | instid1(VALU_DEP_1)
	v_lshrrev_b32_e32 v1, 16, v1
	v_add_nc_u32_e32 v54, s15, v1
	s_waitcnt lgkmcnt(0)
	s_delay_alu instid0(VALU_DEP_1)
	v_cmpx_gt_u64_e64 s[16:17], v[54:55]
	s_cbranch_execz .LBB0_25
; %bb.1:
	s_clause 0x1
	s_load_b128 s[8:11], s[0:1], 0x18
	s_load_b64 s[12:13], s[0:1], 0x0
	v_mul_lo_u16 v1, v1, 56
	s_delay_alu instid0(VALU_DEP_1) | instskip(NEXT) | instid1(VALU_DEP_1)
	v_sub_nc_u16 v0, v0, v1
	v_and_b32_e32 v160, 0xffff, v0
	s_delay_alu instid0(VALU_DEP_1) | instskip(SKIP_2) | instid1(VALU_DEP_1)
	v_lshlrev_b32_e32 v98, 2, v160
	s_waitcnt lgkmcnt(0)
	s_load_b128 s[4:7], s[8:9], 0x0
	v_add_co_u32 v2, s2, s12, v98
	s_delay_alu instid0(VALU_DEP_1)
	v_add_co_ci_u32_e64 v3, null, s13, 0, s2
	global_load_b32 v148, v98, s[12:13] offset:3920
	v_add_co_u32 v50, vcc_lo, 0x1000, v2
	s_clause 0x7
	global_load_b32 v156, v98, s[12:13]
	global_load_b32 v152, v98, s[12:13] offset:224
	global_load_b32 v140, v98, s[12:13] offset:448
	;; [unrolled: 1-line block ×7, first 2 shown]
	scratch_store_b64 off, v[2:3], off      ; 8-byte Folded Spill
	v_add_co_ci_u32_e32 v51, vcc_lo, 0, v3, vcc_lo
	s_waitcnt lgkmcnt(0)
	v_mad_u64_u32 v[0:1], null, s6, v54, 0
	v_mad_u64_u32 v[2:3], null, s4, v160, 0
	s_mul_i32 s3, s5, 0x1ea
	s_mul_hi_u32 s6, s4, 0x1ea
	s_mul_i32 s2, s4, 0x1ea
	s_add_i32 s3, s6, s3
	s_mul_hi_u32 s8, s4, 0xffffe9e8
	s_lshl_b64 s[14:15], s[2:3], 2
	s_delay_alu instid0(VALU_DEP_1) | instskip(SKIP_3) | instid1(SALU_CYCLE_1)
	v_mad_u64_u32 v[4:5], null, s7, v54, v[1:2]
	s_mul_i32 s7, s5, 0xffffe9e8
	s_mul_i32 s2, s4, 0xffffe9e8
	s_sub_i32 s3, s8, s4
	s_add_i32 s3, s3, s7
	s_load_b64 s[6:7], s[0:1], 0x38
	s_delay_alu instid0(VALU_DEP_1) | instskip(SKIP_2) | instid1(VALU_DEP_3)
	v_mov_b32_e32 v1, v4
	v_mad_u64_u32 v[5:6], null, s5, v160, v[3:4]
	v_or_b32_e32 v52, 0x1c0, v160
	v_lshlrev_b64 v[0:1], 2, v[0:1]
	s_delay_alu instid0(VALU_DEP_3)
	v_mov_b32_e32 v3, v5
	s_clause 0x16
	global_load_b32 v159, v98, s[12:13] offset:1960
	global_load_b32 v153, v98, s[12:13] offset:2184
	;; [unrolled: 1-line block ×8, first 2 shown]
	global_load_b32 v150, v[50:51], off offset:48
	global_load_b32 v136, v[50:51], off offset:272
	;; [unrolled: 1-line block ×15, first 2 shown]
	v_add_nc_u32_e32 v19, 0x1000, v98
	v_lshlrev_b64 v[4:5], 2, v[2:3]
	v_add_co_u32 v2, vcc_lo, s18, v0
	v_add_co_ci_u32_e32 v3, vcc_lo, s19, v1, vcc_lo
	v_add_nc_u32_e32 v42, 0x1600, v98
	s_delay_alu instid0(VALU_DEP_3) | instskip(NEXT) | instid1(VALU_DEP_3)
	v_add_co_u32 v0, vcc_lo, v2, v4
	v_add_co_ci_u32_e32 v1, vcc_lo, v3, v5, vcc_lo
	v_add_nc_u32_e32 v17, 0x1800, v98
	s_delay_alu instid0(VALU_DEP_3) | instskip(NEXT) | instid1(VALU_DEP_3)
	v_add_co_u32 v4, vcc_lo, v0, s14
	v_add_co_ci_u32_e32 v5, vcc_lo, s15, v1, vcc_lo
	global_load_b32 v8, v[0:1], off
	v_add_nc_u32_e32 v16, 0xc00, v98
	v_add_nc_u32_e32 v43, 0x1200, v98
	global_load_b32 v9, v[4:5], off
	v_add_co_u32 v0, vcc_lo, v4, s14
	v_add_co_ci_u32_e32 v1, vcc_lo, s15, v5, vcc_lo
	v_add_nc_u32_e32 v44, 0x1a00, v98
	s_delay_alu instid0(VALU_DEP_3) | instskip(NEXT) | instid1(VALU_DEP_3)
	v_add_co_u32 v4, vcc_lo, v0, s14
	v_add_co_ci_u32_e32 v5, vcc_lo, s15, v1, vcc_lo
	global_load_b32 v10, v[0:1], off
	v_add_nc_u32_e32 v18, 0x400, v98
	global_load_b32 v11, v[4:5], off
	v_add_co_u32 v0, vcc_lo, v4, s2
	v_add_co_ci_u32_e32 v1, vcc_lo, s3, v5, vcc_lo
	s_delay_alu instid0(VALU_DEP_2) | instskip(NEXT) | instid1(VALU_DEP_2)
	v_add_co_u32 v4, vcc_lo, v0, s14
	v_add_co_ci_u32_e32 v5, vcc_lo, s15, v1, vcc_lo
	global_load_b32 v12, v[0:1], off
	v_add_co_u32 v0, vcc_lo, v4, s14
	v_add_co_ci_u32_e32 v1, vcc_lo, s15, v5, vcc_lo
	global_load_b32 v13, v[4:5], off
	global_load_b32 v14, v[0:1], off
	v_add_co_u32 v0, vcc_lo, v0, s14
	v_add_co_ci_u32_e32 v1, vcc_lo, s15, v1, vcc_lo
	global_load_b32 v15, v[0:1], off
	v_add_co_u32 v0, vcc_lo, v0, s2
	v_add_co_ci_u32_e32 v1, vcc_lo, s3, v1, vcc_lo
	s_delay_alu instid0(VALU_DEP_2) | instskip(NEXT) | instid1(VALU_DEP_2)
	v_add_co_u32 v4, vcc_lo, v0, s14
	v_add_co_ci_u32_e32 v5, vcc_lo, s15, v1, vcc_lo
	global_load_b32 v20, v[0:1], off
	v_add_co_u32 v0, vcc_lo, v4, s14
	v_add_co_ci_u32_e32 v1, vcc_lo, s15, v5, vcc_lo
	global_load_b32 v21, v[4:5], off
	;; [unrolled: 3-line block ×3, first 2 shown]
	global_load_b32 v23, v[4:5], off
	v_add_co_u32 v0, vcc_lo, v4, s2
	v_add_co_ci_u32_e32 v1, vcc_lo, s3, v5, vcc_lo
	s_delay_alu instid0(VALU_DEP_2) | instskip(NEXT) | instid1(VALU_DEP_2)
	v_add_co_u32 v4, vcc_lo, v0, s14
	v_add_co_ci_u32_e32 v5, vcc_lo, s15, v1, vcc_lo
	global_load_b32 v24, v[0:1], off
	global_load_b32 v25, v[4:5], off
	v_add_co_u32 v0, vcc_lo, v4, s14
	v_add_co_ci_u32_e32 v1, vcc_lo, s15, v5, vcc_lo
	s_delay_alu instid0(VALU_DEP_2) | instskip(NEXT) | instid1(VALU_DEP_2)
	v_add_co_u32 v4, vcc_lo, v0, s14
	v_add_co_ci_u32_e32 v5, vcc_lo, s15, v1, vcc_lo
	global_load_b32 v26, v[0:1], off
	;; [unrolled: 7-line block ×3, first 2 shown]
	v_add_co_u32 v0, vcc_lo, v4, s14
	v_add_co_ci_u32_e32 v1, vcc_lo, s15, v5, vcc_lo
	global_load_b32 v29, v[4:5], off
	v_add_co_u32 v4, vcc_lo, v0, s14
	v_add_co_ci_u32_e32 v5, vcc_lo, s15, v1, vcc_lo
	global_load_b32 v30, v[0:1], off
	global_load_b32 v31, v[4:5], off
	v_add_co_u32 v0, vcc_lo, v4, s2
	v_add_co_ci_u32_e32 v1, vcc_lo, s3, v5, vcc_lo
	s_delay_alu instid0(VALU_DEP_2) | instskip(NEXT) | instid1(VALU_DEP_2)
	v_add_co_u32 v4, vcc_lo, v0, s14
	v_add_co_ci_u32_e32 v5, vcc_lo, s15, v1, vcc_lo
	global_load_b32 v32, v[0:1], off
	global_load_b32 v33, v[4:5], off
	v_add_co_u32 v0, vcc_lo, v4, s14
	v_add_co_ci_u32_e32 v1, vcc_lo, s15, v5, vcc_lo
	s_delay_alu instid0(VALU_DEP_2) | instskip(NEXT) | instid1(VALU_DEP_2)
	;; [unrolled: 7-line block ×3, first 2 shown]
	v_add_co_u32 v4, vcc_lo, v0, s14
	v_add_co_ci_u32_e32 v5, vcc_lo, s15, v1, vcc_lo
	global_load_b32 v36, v[0:1], off
	v_add_co_u32 v0, vcc_lo, v4, s14
	v_add_co_ci_u32_e32 v1, vcc_lo, s15, v5, vcc_lo
	global_load_b32 v37, v[4:5], off
	;; [unrolled: 3-line block ×3, first 2 shown]
	global_load_b32 v39, v[4:5], off
	v_add_co_u32 v0, vcc_lo, v4, s2
	v_add_co_ci_u32_e32 v1, vcc_lo, s3, v5, vcc_lo
	s_mov_b32 s2, 0
	s_delay_alu instid0(VALU_DEP_2) | instskip(NEXT) | instid1(VALU_DEP_2)
	v_add_co_u32 v4, vcc_lo, v0, s14
	v_add_co_ci_u32_e32 v5, vcc_lo, s15, v1, vcc_lo
	global_load_b32 v40, v[0:1], off
	v_add_co_u32 v6, vcc_lo, v4, s14
	v_add_co_ci_u32_e32 v7, vcc_lo, s15, v5, vcc_lo
	global_load_b32 v41, v[4:5], off
	;; [unrolled: 3-line block ×3, first 2 shown]
	global_load_b32 v7, v[0:1], off
	s_load_b128 s[8:11], s[10:11], 0x0
	v_dual_mov_b32 v53, s2 :: v_dual_add_nc_u32 v4, 0x800, v98
	v_add_nc_u32_e32 v5, 0x200, v98
	s_delay_alu instid0(VALU_DEP_2)
	v_cmp_lt_u64_e64 s2, 0x1e9, v[52:53]
	v_cmp_gt_u64_e32 vcc_lo, 0x1ea, v[52:53]
	s_waitcnt vmcnt(62)
	v_lshrrev_b32_e32 v47, 16, v156
	s_waitcnt vmcnt(61)
	v_lshrrev_b32_e32 v102, 16, v152
	;; [unrolled: 2-line block ×4, first 2 shown]
	v_lshrrev_b32_e32 v99, 16, v148
	s_waitcnt vmcnt(58)
	v_lshrrev_b32_e32 v87, 16, v83
	s_waitcnt vmcnt(57)
	;; [unrolled: 2-line block ×8, first 2 shown]
	v_lshrrev_b32_e32 v96, 16, v147
	v_lshrrev_b32_e32 v93, 16, v141
	;; [unrolled: 1-line block ×3, first 2 shown]
	s_waitcnt vmcnt(37)
	v_lshrrev_b32_e32 v89, 16, v132
	v_lshrrev_b32_e32 v57, 16, v151
	;; [unrolled: 1-line block ×4, first 2 shown]
	s_waitcnt vmcnt(36)
	v_lshrrev_b32_e32 v88, 16, v131
	v_lshrrev_b32_e32 v85, 16, v81
	v_lshrrev_b32_e32 v80, 16, v77
	s_waitcnt vmcnt(35)
	v_lshrrev_b32_e32 v76, 16, v73
	v_lshrrev_b32_e32 v84, 16, v79
	v_lshrrev_b32_e32 v78, 16, v75
	;; [unrolled: 4-line block ×4, first 2 shown]
	s_waitcnt vmcnt(32)
	v_lshrrev_b32_e32 v58, 16, v48
	s_waitcnt vmcnt(31)
	v_lshrrev_b32_e32 v45, 16, v8
	v_mul_f16_e32 v46, v47, v8
	s_waitcnt vmcnt(30)
	v_lshrrev_b32_e32 v55, 16, v9
	v_mul_f16_e32 v56, v101, v9
	v_mul_f16_e32 v47, v47, v45
	v_fma_f16 v45, v156, v45, -v46
	s_delay_alu instid0(VALU_DEP_2)
	v_fmac_f16_e64 v47, v156, v8
	v_mul_f16_e32 v8, v101, v55
	v_fma_f16 v55, v159, v55, -v56
	s_waitcnt vmcnt(29)
	v_lshrrev_b32_e32 v46, 16, v10
	v_mul_f16_e32 v56, v99, v10
	v_pack_b32_f16 v45, v47, v45
	v_fmac_f16_e64 v8, v159, v9
	s_waitcnt vmcnt(28)
	v_lshrrev_b32_e32 v47, 16, v11
	v_mul_f16_e32 v9, v99, v46
	v_fma_f16 v46, v148, v46, -v56
	v_mul_f16_e32 v56, v57, v11
	v_pack_b32_f16 v8, v8, v55
	s_delay_alu instid0(VALU_DEP_4) | instskip(SKIP_1) | instid1(VALU_DEP_4)
	v_fmac_f16_e64 v9, v148, v10
	v_mul_f16_e32 v10, v57, v47
	v_fma_f16 v47, v151, v47, -v56
	s_waitcnt vmcnt(27)
	v_lshrrev_b32_e32 v55, 16, v12
	v_mul_f16_e32 v56, v102, v12
	v_pack_b32_f16 v9, v9, v46
	v_fmac_f16_e64 v10, v151, v11
	s_delay_alu instid0(VALU_DEP_4)
	v_mul_f16_e32 v11, v102, v55
	s_waitcnt vmcnt(26)
	v_lshrrev_b32_e32 v46, 16, v13
	v_mul_f16_e32 v57, v100, v13
	v_fma_f16 v55, v152, v55, -v56
	v_pack_b32_f16 v10, v10, v47
	v_fmac_f16_e64 v11, v152, v12
	v_mul_f16_e32 v12, v100, v46
	s_waitcnt vmcnt(25)
	v_lshrrev_b32_e32 v47, 16, v14
	v_fma_f16 v46, v153, v46, -v57
	v_mul_f16_e32 v56, v97, v14
	ds_store_b32 v98, v8 offset:1960
	ds_store_b32 v98, v9 offset:3920
	;; [unrolled: 1-line block ×3, first 2 shown]
	v_pack_b32_f16 v8, v11, v55
	v_fmac_f16_e64 v12, v153, v13
	v_mul_f16_e32 v9, v97, v47
	s_waitcnt vmcnt(24)
	v_lshrrev_b32_e32 v11, 16, v15
	v_fma_f16 v10, v150, v47, -v56
	v_mul_f16_e32 v13, v96, v15
	ds_store_2addr_b32 v98, v45, v8 offset1:56
	v_pack_b32_f16 v8, v12, v46
	v_fmac_f16_e64 v9, v150, v14
	v_mul_f16_e32 v12, v96, v11
	s_waitcnt vmcnt(23)
	v_lshrrev_b32_e32 v14, 16, v20
	v_fma_f16 v11, v147, v11, -v13
	v_mul_f16_e32 v13, v95, v20
	v_pack_b32_f16 v9, v9, v10
	v_fmac_f16_e64 v12, v147, v15
	v_mul_f16_e32 v10, v95, v14
	s_waitcnt vmcnt(22)
	v_lshrrev_b32_e32 v15, 16, v21
	v_fma_f16 v13, v140, v14, -v13
	v_mul_f16_e32 v14, v93, v21
	;; [unrolled: 7-line block ×3, first 2 shown]
	v_pack_b32_f16 v10, v10, v13
	v_fmac_f16_e64 v12, v141, v21
	v_mul_f16_e32 v13, v91, v20
	s_waitcnt vmcnt(20)
	v_lshrrev_b32_e32 v21, 16, v23
	v_mul_f16_e32 v45, v89, v23
	v_fma_f16 v15, v136, v20, -v15
	v_pack_b32_f16 v12, v12, v14
	v_fmac_f16_e64 v13, v136, v22
	v_mul_f16_e32 v14, v89, v21
	v_fma_f16 v20, v132, v21, -v45
	s_waitcnt vmcnt(19)
	v_lshrrev_b32_e32 v21, 16, v24
	v_mul_f16_e32 v22, v94, v24
	ds_store_2addr_b32 v4, v8, v12 offset0:34 offset1:90
	v_pack_b32_f16 v8, v13, v15
	v_fmac_f16_e64 v14, v132, v23
	v_mul_f16_e32 v12, v94, v21
	v_fma_f16 v13, v139, v21, -v22
	s_waitcnt vmcnt(18)
	v_lshrrev_b32_e32 v15, 16, v25
	v_mul_f16_e32 v21, v92, v25
	ds_store_2addr_b32 v19, v9, v8 offset0:12 offset1:68
	;; [unrolled: 8-line block ×3, first 2 shown]
	v_pack_b32_f16 v8, v12, v13
	v_fmac_f16_e64 v9, v138, v25
	v_mul_f16_e32 v11, v90, v15
	s_waitcnt vmcnt(16)
	v_lshrrev_b32_e32 v13, 16, v27
	v_fma_f16 v12, v134, v15, -v20
	v_mul_f16_e32 v15, v88, v27
	ds_store_2addr_b32 v98, v10, v8 offset0:112 offset1:168
	v_pack_b32_f16 v8, v9, v14
	v_fmac_f16_e64 v11, v134, v26
	v_mul_f16_e32 v9, v88, v13
	s_waitcnt vmcnt(15)
	v_lshrrev_b32_e32 v10, 16, v28
	v_fma_f16 v13, v131, v13, -v15
	v_mul_f16_e32 v14, v87, v28
	v_pack_b32_f16 v11, v11, v12
	v_fmac_f16_e64 v9, v131, v27
	v_mul_f16_e32 v12, v87, v10
	s_waitcnt vmcnt(14)
	v_lshrrev_b32_e32 v15, 16, v29
	v_fma_f16 v10, v83, v10, -v14
	v_mul_f16_e32 v14, v85, v29
	v_pack_b32_f16 v9, v9, v13
	v_fmac_f16_e32 v12, v83, v28
	v_mul_f16_e32 v13, v85, v15
	s_waitcnt vmcnt(13)
	v_lshrrev_b32_e32 v20, 16, v30
	v_fma_f16 v14, v81, v15, -v14
	v_mul_f16_e32 v15, v80, v30
	v_pack_b32_f16 v10, v12, v10
	v_fmac_f16_e32 v13, v81, v29
	v_mul_f16_e32 v12, v80, v20
	s_waitcnt vmcnt(12)
	v_lshrrev_b32_e32 v21, 16, v31
	v_mul_f16_e32 v22, v76, v31
	v_fma_f16 v15, v77, v20, -v15
	v_pack_b32_f16 v13, v13, v14
	v_fmac_f16_e32 v12, v77, v30
	v_mul_f16_e32 v14, v76, v21
	v_fma_f16 v20, v73, v21, -v22
	s_waitcnt vmcnt(11)
	v_lshrrev_b32_e32 v21, 16, v32
	v_mul_f16_e32 v22, v86, v32
	ds_store_2addr_b32 v4, v8, v13 offset0:146 offset1:202
	v_pack_b32_f16 v8, v12, v15
	v_fmac_f16_e32 v14, v73, v31
	v_mul_f16_e32 v12, v86, v21
	v_fma_f16 v13, v82, v21, -v22
	s_waitcnt vmcnt(10)
	v_lshrrev_b32_e32 v15, 16, v33
	v_mul_f16_e32 v21, v84, v33
	ds_store_2addr_b32 v19, v11, v8 offset0:124 offset1:180
	;; [unrolled: 8-line block ×3, first 2 shown]
	v_pack_b32_f16 v8, v12, v13
	v_fmac_f16_e32 v11, v79, v33
	v_mul_f16_e32 v9, v78, v15
	s_waitcnt vmcnt(8)
	v_lshrrev_b32_e32 v13, 16, v35
	v_fma_f16 v12, v75, v15, -v20
	v_mul_f16_e32 v15, v74, v35
	ds_store_2addr_b32 v5, v10, v8 offset0:96 offset1:152
	v_pack_b32_f16 v8, v11, v14
	v_fmac_f16_e32 v9, v75, v34
	v_mul_f16_e32 v10, v74, v13
	s_waitcnt vmcnt(7)
	v_lshrrev_b32_e32 v11, 16, v36
	v_fma_f16 v13, v72, v13, -v15
	v_mul_f16_e32 v14, v71, v36
	v_pack_b32_f16 v9, v9, v12
	v_fmac_f16_e32 v10, v72, v35
	v_mul_f16_e32 v12, v71, v11
	s_waitcnt vmcnt(6)
	v_lshrrev_b32_e32 v15, 16, v37
	v_fma_f16 v11, v69, v11, -v14
	v_mul_f16_e32 v14, v70, v37
	;; [unrolled: 7-line block ×3, first 2 shown]
	v_pack_b32_f16 v11, v12, v11
	v_fmac_f16_e32 v13, v67, v37
	v_mul_f16_e32 v12, v68, v20
	s_waitcnt vmcnt(4)
	v_lshrrev_b32_e32 v21, 16, v39
	v_mul_f16_e32 v22, v65, v39
	v_fma_f16 v15, v66, v20, -v15
	v_pack_b32_f16 v13, v13, v14
	v_fmac_f16_e32 v12, v66, v38
	v_mul_f16_e32 v14, v65, v21
	v_fma_f16 v20, v63, v21, -v22
	s_waitcnt vmcnt(3)
	v_lshrrev_b32_e32 v21, 16, v40
	v_mul_f16_e32 v22, v64, v40
	ds_store_2addr_b32 v16, v8, v13 offset0:2 offset1:58
	v_pack_b32_f16 v8, v12, v15
	s_waitcnt vmcnt(2)
	v_lshrrev_b32_e32 v15, 16, v41
	v_mul_f16_e32 v12, v64, v21
	v_fma_f16 v13, v62, v21, -v22
	v_mul_f16_e32 v21, v61, v41
	ds_store_2addr_b32 v43, v9, v8 offset0:108 offset1:164
	s_waitcnt vmcnt(1)
	v_lshrrev_b32_e32 v8, 16, v6
	s_waitcnt vmcnt(0)
	v_lshrrev_b32_e32 v22, 16, v7
	v_mul_f16_e32 v9, v61, v15
	v_fma_f16 v15, v60, v15, -v21
	v_mul_f16_e32 v21, v59, v6
	v_mul_f16_e32 v23, v59, v8
	;; [unrolled: 1-line block ×4, first 2 shown]
	v_fmac_f16_e32 v14, v63, v39
	v_fmac_f16_e32 v12, v62, v40
	;; [unrolled: 1-line block ×3, first 2 shown]
	v_fma_f16 v8, v49, v8, -v21
	v_fmac_f16_e32 v23, v49, v6
	v_fma_f16 v6, v48, v22, -v24
	v_fmac_f16_e32 v25, v48, v7
	v_pack_b32_f16 v7, v14, v20
	v_pack_b32_f16 v12, v12, v13
	;; [unrolled: 1-line block ×5, first 2 shown]
	s_clause 0x1f
	scratch_store_b32 off, v81, off offset:108
	scratch_store_b32 off, v82, off offset:112
	;; [unrolled: 1-line block ×32, first 2 shown]
	ds_store_2addr_b32 v44, v10, v7 offset0:86 offset1:142
	ds_store_2addr_b32 v18, v11, v12 offset0:80 offset1:136
	ds_store_b32 v98, v9 offset:3528
	ds_store_b32 v98, v8 offset:5488
	;; [unrolled: 1-line block ×3, first 2 shown]
	s_and_saveexec_b32 s16, vcc_lo
	s_cbranch_execz .LBB0_3
; %bb.2:
	scratch_load_b64 v[11:12], off, off     ; 8-byte Folded Reload
	v_mad_u64_u32 v[6:7], null, s4, v52, 0
	v_mad_u64_u32 v[8:9], null, 0xfffff190, s4, v[0:1]
	s_mul_i32 s3, s5, 0xfffff190
	s_waitcnt vmcnt(0)
	s_clause 0x1
	global_load_b32 v10, v[11:12], off offset:1792
	global_load_b32 v11, v[11:12], off offset:3752
	v_mad_u64_u32 v[0:1], null, s5, v52, v[7:8]
	s_sub_i32 s3, s3, s4
	s_delay_alu instid0(SALU_CYCLE_1) | instskip(NEXT) | instid1(VALU_DEP_2)
	v_add_nc_u32_e32 v9, s3, v9
	v_mov_b32_e32 v7, v0
	v_add_co_u32 v0, s3, v8, s14
	s_delay_alu instid0(VALU_DEP_1) | instskip(NEXT) | instid1(VALU_DEP_3)
	v_add_co_ci_u32_e64 v1, s3, s15, v9, s3
	v_lshlrev_b64 v[6:7], 2, v[6:7]
	s_clause 0x1
	global_load_b32 v12, v[50:51], off offset:1616
	global_load_b32 v13, v[50:51], off offset:3576
	global_load_b32 v8, v[8:9], off
	global_load_b32 v9, v[0:1], off
	v_add_co_u32 v2, s3, v2, v6
	s_delay_alu instid0(VALU_DEP_1) | instskip(SKIP_1) | instid1(VALU_DEP_1)
	v_add_co_ci_u32_e64 v3, s3, v3, v7, s3
	v_add_co_u32 v0, s3, v0, s14
	v_add_co_ci_u32_e64 v1, s3, s15, v1, s3
	global_load_b32 v2, v[2:3], off
	global_load_b32 v0, v[0:1], off
	s_waitcnt vmcnt(7)
	v_lshrrev_b32_e32 v6, 16, v10
	s_waitcnt vmcnt(6)
	v_lshrrev_b32_e32 v1, 16, v11
	;; [unrolled: 2-line block ×5, first 2 shown]
	v_mul_f16_e32 v7, v1, v8
	s_waitcnt vmcnt(2)
	v_lshrrev_b32_e32 v20, 16, v9
	s_delay_alu instid0(VALU_DEP_3) | instskip(NEXT) | instid1(VALU_DEP_3)
	v_mul_f16_e32 v1, v1, v3
	v_fma_f16 v3, v11, v3, -v7
	v_mul_f16_e32 v7, v14, v9
	s_delay_alu instid0(VALU_DEP_3) | instskip(SKIP_1) | instid1(VALU_DEP_3)
	v_fmac_f16_e32 v1, v11, v8
	v_mul_f16_e32 v8, v14, v20
	v_fma_f16 v7, v12, v20, -v7
	s_waitcnt vmcnt(1)
	v_lshrrev_b32_e32 v21, 16, v2
	s_waitcnt vmcnt(0)
	v_lshrrev_b32_e32 v11, 16, v0
	v_mul_f16_e32 v14, v6, v2
	v_mul_f16_e32 v20, v15, v0
	v_fmac_f16_e32 v8, v12, v9
	v_mul_f16_e32 v6, v6, v21
	v_mul_f16_e32 v15, v15, v11
	v_fma_f16 v14, v10, v21, -v14
	v_pack_b32_f16 v1, v1, v3
	v_pack_b32_f16 v3, v8, v7
	v_fmac_f16_e32 v6, v10, v2
	v_fma_f16 v2, v13, v11, -v20
	v_fmac_f16_e32 v15, v13, v0
	s_delay_alu instid0(VALU_DEP_3) | instskip(NEXT) | instid1(VALU_DEP_2)
	v_pack_b32_f16 v0, v6, v14
	v_pack_b32_f16 v2, v15, v2
	ds_store_b32 v98, v0 offset:1792
	ds_store_b32 v98, v1 offset:3752
	;; [unrolled: 1-line block ×4, first 2 shown]
.LBB0_3:
	s_or_b32 exec_lo, exec_lo, s16
	v_add_nc_u32_e32 v0, 0x600, v98
	v_add_nc_u32_e32 v1, 0xe00, v98
	;; [unrolled: 1-line block ×3, first 2 shown]
	s_waitcnt lgkmcnt(0)
	s_waitcnt_vscnt null, 0x0
	s_barrier
	buffer_gl0_inv
	ds_load_2addr_b32 v[12:13], v98 offset1:56
	ds_load_2addr_b32 v[14:15], v0 offset0:106 offset1:162
	ds_load_2addr_b32 v[28:29], v1 offset0:84 offset1:140
	;; [unrolled: 1-line block ×4, first 2 shown]
	v_add_nc_u32_e32 v0, 0xa00, v98
	ds_load_2addr_b32 v[10:11], v4 offset0:90 offset1:146
	ds_load_2addr_b32 v[24:25], v19 offset0:68 offset1:124
	;; [unrolled: 1-line block ×6, first 2 shown]
	v_add_nc_u32_e32 v19, 0x1c00, v98
	ds_load_2addr_b32 v[22:23], v17 offset0:158 offset1:214
	ds_load_2addr_b32 v[0:1], v18 offset0:80 offset1:136
	;; [unrolled: 1-line block ×5, first 2 shown]
                                        ; implicit-def: $vgpr32
                                        ; implicit-def: $vgpr34
                                        ; implicit-def: $vgpr33
                                        ; implicit-def: $vgpr35
	s_and_saveexec_b32 s3, vcc_lo
	s_cbranch_execz .LBB0_5
; %bb.4:
	ds_load_b32 v32, v98 offset:1792
	ds_load_b32 v33, v98 offset:3752
	;; [unrolled: 1-line block ×4, first 2 shown]
.LBB0_5:
	s_or_b32 exec_lo, exec_lo, s3
	s_waitcnt lgkmcnt(8)
	v_pk_add_f16 v26, v10, v26 neg_lo:[0,1] neg_hi:[0,1]
	s_waitcnt lgkmcnt(1)
	v_pk_add_f16 v78, v0, v16 neg_lo:[0,1] neg_hi:[0,1]
	v_pk_add_f16 v81, v1, v17 neg_lo:[0,1] neg_hi:[0,1]
	;; [unrolled: 1-line block ×4, first 2 shown]
	v_lshrrev_b32_e32 v24, 16, v26
	v_pk_add_f16 v64, v6, v22 neg_lo:[0,1] neg_hi:[0,1]
	s_waitcnt lgkmcnt(0)
	v_pk_add_f16 v75, v2, v18 neg_lo:[0,1] neg_hi:[0,1]
	v_pk_add_f16 v80, v3, v19 neg_lo:[0,1] neg_hi:[0,1]
	v_lshrrev_b32_e32 v17, 16, v78
	v_lshrrev_b32_e32 v18, 16, v81
	s_load_b64 s[4:5], s[0:1], 0x8
	v_add_co_u32 v46, s0, v160, 56
	s_delay_alu instid0(VALU_DEP_1)
	v_add_co_ci_u32_e64 v36, null, 0, 0, s0
	v_pk_add_f16 v30, v14, v30 neg_lo:[0,1] neg_hi:[0,1]
	v_add_co_u32 v58, s0, 0x118, v160
	v_pk_add_f16 v28, v12, v28 neg_lo:[0,1] neg_hi:[0,1]
	v_sub_f16_e32 v56, v45, v24
	v_pk_add_f16 v61, v9, v25 neg_lo:[0,1] neg_hi:[0,1]
	v_lshrrev_b32_e32 v24, 16, v27
	v_pk_add_f16 v66, v4, v20 neg_lo:[0,1] neg_hi:[0,1]
	v_lshrrev_b32_e32 v20, 16, v64
	v_pk_add_f16 v69, v7, v23 neg_lo:[0,1] neg_hi:[0,1]
	v_add_f16_e32 v84, v17, v75
	v_add_f16_e32 v88, v18, v80
	v_add_co_ci_u32_e64 v36, null, 0, 0, s0
	v_add_co_u32 v57, s0, 0x150, v160
	s_delay_alu instid0(VALU_DEP_1)
	v_add_co_ci_u32_e64 v37, null, 0, 0, s0
	v_lshrrev_b32_e32 v36, 16, v30
	v_lshrrev_b32_e32 v37, 16, v28
	v_pk_add_f16 v31, v15, v31 neg_lo:[0,1] neg_hi:[0,1]
	v_pk_add_f16 v29, v13, v29 neg_lo:[0,1] neg_hi:[0,1]
	v_sub_f16_e32 v65, v61, v24
	v_lshrrev_b32_e32 v24, 16, v66
	v_sub_f16_e32 v70, v66, v20
	v_pk_add_f16 v71, v5, v21 neg_lo:[0,1] neg_hi:[0,1]
	v_lshrrev_b32_e32 v20, 16, v69
	v_fma_f16 v89, v17, 2.0, -v84
	v_pk_add_f16 v17, v33, v35 neg_lo:[0,1] neg_hi:[0,1]
	v_fma_f16 v35, v18, 2.0, -v88
	v_pk_fma_f16 v18, v12, 2.0, v28 op_sel_hi:[1,0,1] neg_lo:[0,0,1] neg_hi:[0,0,1]
	v_pk_fma_f16 v14, v14, 2.0, v30 op_sel_hi:[1,0,1] neg_lo:[0,0,1] neg_hi:[0,0,1]
	v_add_co_u32 v59, s0, 0x188, v160
	s_delay_alu instid0(VALU_DEP_1)
	v_add_co_ci_u32_e64 v38, null, 0, 0, s0
	v_sub_f16_e32 v36, v28, v36
	v_lshrrev_b32_e32 v38, 16, v31
	v_add_f16_e32 v39, v37, v30
	v_lshrrev_b32_e32 v44, 16, v29
	v_lshrrev_b32_e32 v55, 16, v45
	;; [unrolled: 1-line block ×3, first 2 shown]
	v_add_f16_e32 v73, v24, v64
	v_lshrrev_b32_e32 v21, 16, v71
	v_sub_f16_e32 v77, v71, v20
	v_pk_add_f16 v20, v18, v14 neg_lo:[0,1] neg_hi:[0,1]
	v_pk_fma_f16 v13, v13, 2.0, v29 op_sel_hi:[1,0,1] neg_lo:[0,0,1] neg_hi:[0,0,1]
	v_pk_fma_f16 v14, v15, 2.0, v31 op_sel_hi:[1,0,1] neg_lo:[0,0,1] neg_hi:[0,0,1]
	v_fma_f16 v43, v28, 2.0, -v36
	v_sub_f16_e32 v38, v29, v38
	v_fma_f16 v37, v37, 2.0, -v39
	v_add_f16_e32 v47, v44, v31
	v_add_f16_e32 v62, v55, v26
	;; [unrolled: 1-line block ×3, first 2 shown]
	v_fma_f16 v76, v24, 2.0, -v73
	v_add_f16_e32 v79, v21, v69
	v_pk_add_f16 v24, v13, v14 neg_lo:[0,1] neg_hi:[0,1]
	v_pk_fma_f16 v8, v8, 2.0, v45 op_sel_hi:[1,0,1] neg_lo:[0,0,1] neg_hi:[0,0,1]
	v_pk_fma_f16 v10, v10, 2.0, v26 op_sel_hi:[1,0,1] neg_lo:[0,0,1] neg_hi:[0,0,1]
	v_lshrrev_b32_e32 v16, 16, v75
	v_add_co_u32 v40, null, 0x70, v160
	v_fma_f16 v53, v29, 2.0, -v38
	v_fma_f16 v60, v44, 2.0, -v47
	v_fma_f16 v63, v45, 2.0, -v56
	v_fma_f16 v55, v55, 2.0, -v62
	v_fma_f16 v72, v22, 2.0, -v67
	v_fma_f16 v85, v21, 2.0, -v79
	v_lshlrev_b32_e32 v118, 4, v160
	v_pk_fma_f16 v18, v18, 2.0, v20 op_sel_hi:[1,0,1] neg_lo:[0,0,1] neg_hi:[0,0,1]
	v_pack_b32_f16 v21, v36, v39
	v_pack_b32_f16 v19, v43, v37
	v_pk_fma_f16 v22, v13, 2.0, v24 op_sel_hi:[1,0,1] neg_lo:[0,0,1] neg_hi:[0,0,1]
	v_pk_add_f16 v10, v8, v10 neg_lo:[0,1] neg_hi:[0,1]
	v_pk_fma_f16 v13, v9, 2.0, v61 op_sel_hi:[1,0,1] neg_lo:[0,0,1] neg_hi:[0,0,1]
	v_pk_fma_f16 v9, v11, 2.0, v27 op_sel_hi:[1,0,1] neg_lo:[0,0,1] neg_hi:[0,0,1]
	v_sub_f16_e32 v83, v78, v16
	v_lshrrev_b32_e32 v16, 16, v80
	s_waitcnt lgkmcnt(0)
	s_barrier
	buffer_gl0_inv
	v_lshlrev_b32_e32 v115, 4, v46
	v_pack_b32_f16 v25, v38, v47
	v_pack_b32_f16 v23, v53, v60
	ds_store_b128 v118, v[18:21]
	v_lshlrev_b32_e32 v116, 4, v40
	v_pk_fma_f16 v8, v8, 2.0, v10 op_sel_hi:[1,0,1] neg_lo:[0,0,1] neg_hi:[0,0,1]
	v_pack_b32_f16 v11, v56, v62
	v_pk_add_f16 v20, v13, v9 neg_lo:[0,1] neg_hi:[0,1]
	v_pack_b32_f16 v9, v63, v55
	v_add_co_u32 v41, null, 0xa8, v160
	v_fma_f16 v68, v61, 2.0, -v65
	v_sub_f16_e32 v87, v81, v16
	v_pk_add_f16 v16, v32, v34 neg_lo:[0,1] neg_hi:[0,1]
	v_pk_fma_f16 v4, v4, 2.0, v66 op_sel_hi:[1,0,1] neg_lo:[0,0,1] neg_hi:[0,0,1]
	v_pk_fma_f16 v6, v6, 2.0, v64 op_sel_hi:[1,0,1] neg_lo:[0,0,1] neg_hi:[0,0,1]
	ds_store_b128 v115, v[22:25]
	ds_store_b128 v116, v[8:11]
	v_pk_fma_f16 v8, v5, 2.0, v71 op_sel_hi:[1,0,1] neg_lo:[0,0,1] neg_hi:[0,0,1]
	v_pk_fma_f16 v5, v7, 2.0, v69 op_sel_hi:[1,0,1] neg_lo:[0,0,1] neg_hi:[0,0,1]
	;; [unrolled: 1-line block ×4, first 2 shown]
	v_lshlrev_b32_e32 v48, 4, v41
	v_pk_fma_f16 v18, v13, 2.0, v20 op_sel_hi:[1,0,1] neg_lo:[0,0,1] neg_hi:[0,0,1]
	v_pack_b32_f16 v21, v65, v67
	v_pack_b32_f16 v19, v68, v72
	v_pk_fma_f16 v13, v1, 2.0, v81 op_sel_hi:[1,0,1] neg_lo:[0,0,1] neg_hi:[0,0,1]
	v_pk_fma_f16 v1, v3, 2.0, v80 op_sel_hi:[1,0,1] neg_lo:[0,0,1] neg_hi:[0,0,1]
	v_add_co_u32 v42, null, 0xe0, v160
	v_fma_f16 v74, v66, 2.0, -v70
	v_pk_add_f16 v12, v16, v17 op_sel:[0,1] op_sel_hi:[1,0]
	v_pk_add_f16 v6, v4, v6 neg_lo:[0,1] neg_hi:[0,1]
	v_fma_f16 v82, v71, 2.0, -v77
	v_pk_add_f16 v10, v8, v5 neg_lo:[0,1] neg_hi:[0,1]
	v_fma_f16 v86, v78, 2.0, -v83
	;; [unrolled: 2-line block ×3, first 2 shown]
	ds_store_b128 v48, v[18:21]
	v_pk_add_f16 v20, v13, v1 neg_lo:[0,1] neg_hi:[0,1]
	v_pk_add_f16 v44, v16, v17 op_sel:[0,1] op_sel_hi:[1,0] neg_lo:[0,1] neg_hi:[0,1]
	v_lshlrev_b32_e32 v49, 4, v42
	v_pk_fma_f16 v4, v4, 2.0, v6 op_sel_hi:[1,0,1] neg_lo:[0,0,1] neg_hi:[0,0,1]
	v_pack_b32_f16 v7, v70, v73
	v_pack_b32_f16 v5, v74, v76
	v_lshlrev_b32_e32 v106, 4, v58
	v_lshlrev_b32_e32 v109, 4, v57
	;; [unrolled: 1-line block ×3, first 2 shown]
	v_lshrrev_b32_e32 v45, 16, v12
	v_pk_fma_f16 v8, v8, 2.0, v10 op_sel_hi:[1,0,1] neg_lo:[0,0,1] neg_hi:[0,0,1]
	v_pack_b32_f16 v11, v77, v79
	v_pack_b32_f16 v9, v82, v85
	v_pk_fma_f16 v0, v0, 2.0, v2 op_sel_hi:[1,0,1] neg_lo:[0,0,1] neg_hi:[0,0,1]
	v_pack_b32_f16 v3, v83, v84
	v_pack_b32_f16 v1, v86, v89
	;; [unrolled: 3-line block ×3, first 2 shown]
	ds_store_b128 v49, v[4:7]
	ds_store_b128 v106, v[8:11]
	;; [unrolled: 1-line block ×4, first 2 shown]
	s_and_saveexec_b32 s0, s2
	s_delay_alu instid0(SALU_CYCLE_1)
	s_xor_b32 s0, exec_lo, s0
; %bb.6:
                                        ; implicit-def: $vgpr32
                                        ; implicit-def: $vgpr16
                                        ; implicit-def: $vgpr33
                                        ; implicit-def: $vgpr17
                                        ; implicit-def: $vgpr12
; %bb.7:
	s_delay_alu instid0(SALU_CYCLE_1)
	s_or_saveexec_b32 s0, s0
	v_lshlrev_b32_e32 v112, 4, v52
	s_xor_b32 exec_lo, exec_lo, s0
	s_cbranch_execz .LBB0_9
; %bb.8:
	v_pk_fma_f16 v0, v32, 2.0, v16 op_sel_hi:[1,0,1] neg_lo:[0,0,1] neg_hi:[0,0,1]
	v_pk_fma_f16 v1, v33, 2.0, v17 op_sel_hi:[1,0,1] neg_lo:[0,0,1] neg_hi:[0,0,1]
	v_bfi_b32 v3, 0xffff, v44, v12
	s_delay_alu instid0(VALU_DEP_2) | instskip(NEXT) | instid1(VALU_DEP_2)
	v_pk_add_f16 v2, v0, v1 neg_lo:[0,1] neg_hi:[0,1]
	v_pk_fma_f16 v1, v16, 2.0, v3 op_sel_hi:[1,0,1] neg_lo:[0,0,1] neg_hi:[0,0,1]
	s_delay_alu instid0(VALU_DEP_2)
	v_pk_fma_f16 v0, v0, 2.0, v2 op_sel_hi:[1,0,1] neg_lo:[0,0,1] neg_hi:[0,0,1]
	ds_store_b128 v112, v[0:3]
.LBB0_9:
	s_or_b32 exec_lo, exec_lo, s0
	v_and_b32_e32 v12, 3, v160
	s_waitcnt lgkmcnt(0)
	s_barrier
	buffer_gl0_inv
	v_add_nc_u32_e32 v15, 0x200, v98
	v_mul_u32_u24_e32 v0, 6, v12
	v_add_nc_u32_e32 v10, 0x800, v98
	v_add_nc_u32_e32 v38, 0xc00, v98
	v_add_nc_u32_e32 v17, 0x1000, v98
	v_add_nc_u32_e32 v13, 0x1400, v98
	v_lshlrev_b32_e32 v4, 2, v0
	v_add_nc_u32_e32 v11, 0x1800, v98
	v_add_nc_u32_e32 v14, 0x400, v98
	;; [unrolled: 1-line block ×4, first 2 shown]
	s_clause 0x1
	global_load_b128 v[0:3], v4, s[4:5]
	global_load_b64 v[55:56], v4, s[4:5] offset:16
	ds_load_2addr_b32 v[8:9], v98 offset1:56
	ds_load_2addr_b32 v[6:7], v98 offset0:112 offset1:168
	v_add_nc_u32_e32 v18, 0xe00, v98
	ds_load_b32 v43, v98 offset:7616
	ds_load_2addr_b32 v[4:5], v15 offset0:96 offset1:152
	ds_load_2addr_b32 v[30:31], v10 offset0:48 offset1:104
	;; [unrolled: 1-line block ×11, first 2 shown]
	ds_load_2addr_b32 v[72:73], v39 offset1:56
	ds_load_2addr_b32 v[74:75], v14 offset0:192 offset1:248
	ds_load_2addr_b32 v[76:77], v18 offset0:112 offset1:168
	;; [unrolled: 1-line block ×3, first 2 shown]
	s_waitcnt vmcnt(0) lgkmcnt(0)
	s_barrier
	buffer_gl0_inv
	v_cmp_gt_u16_e64 s0, 28, v160
	v_lshrrev_b32_e32 v80, 16, v43
	v_lshrrev_b32_e32 v81, 16, v5
	;; [unrolled: 1-line block ×41, first 2 shown]
	v_mul_f16_e64 v127, v81, v169
	v_mul_f16_e64 v128, v5, v169
	;; [unrolled: 1-line block ×25, first 2 shown]
	v_fma_f16 v5, v5, v0, -v127
	v_fmac_f16_e64 v128, v81, v0
	v_fma_f16 v30, v30, v1, -v129
	v_fmac_f16_e64 v130, v82, v1
	;; [unrolled: 2-line block ×6, first 2 shown]
	v_fmac_f16_e64 v154, v87, v0
	v_fmac_f16_e64 v157, v88, v1
	;; [unrolled: 1-line block ×4, first 2 shown]
	v_mul_f16_e64 v187, v72, v166
	v_mul_f16_e64 v27, v74, v169
	;; [unrolled: 1-line block ×7, first 2 shown]
	v_fma_f16 v62, v62, v0, -v149
	v_fma_f16 v31, v31, v1, -v155
	;; [unrolled: 1-line block ×3, first 2 shown]
	v_fmac_f16_e64 v161, v89, v2
	v_fma_f16 v35, v35, v3, -v162
	v_fmac_f16_e64 v163, v90, v3
	v_fma_f16 v66, v66, v55, -v164
	v_fma_f16 v61, v61, v56, -v172
	v_fmac_f16_e32 v26, v80, v56
	v_add_f16_e32 v80, v5, v60
	v_add_f16_e64 v81, v128, v146
	v_sub_f16_e32 v5, v5, v60
	v_sub_f16_e64 v60, v128, v146
	v_add_f16_e32 v82, v30, v37
	v_add_f16_e64 v83, v130, v144
	v_sub_f16_e32 v30, v30, v37
	v_sub_f16_e64 v37, v130, v144
	;; [unrolled: 4-line block ×3, first 2 shown]
	v_add_f16_e64 v87, v154, v173
	v_add_f16_e64 v89, v157, v165
	v_mul_f16_e64 v186, v101, v166
	v_mul_f16_e64 v188, v102, v169
	v_mul_f16_e64 v28, v69, v171
	v_mul_f16_e64 v190, v107, v170
	v_mul_f16_e64 v192, v71, v168
	v_mul_f16_e64 v193, v111, v167
	v_mul_f16_e64 v196, v73, v166
	v_mul_f16_e64 v197, v114, v169
	v_mul_f16_e64 v22, v32, v171
	v_mul_f16_e64 v199, v119, v170
	v_mul_f16_e64 v25, v79, v167
	v_fmac_f16_e64 v187, v101, v56
	v_fmac_f16_e32 v27, v102, v0
	v_fmac_f16_e32 v29, v107, v2
	v_fmac_f16_e64 v194, v111, v55
	v_fmac_f16_e32 v21, v114, v0
	v_fmac_f16_e32 v23, v119, v2
	v_add_f16_e32 v86, v62, v61
	v_sub_f16_e32 v61, v62, v61
	v_sub_f16_e64 v62, v154, v173
	v_add_f16_e32 v88, v31, v66
	v_sub_f16_e32 v31, v31, v66
	v_sub_f16_e64 v66, v157, v165
	v_add_f16_e32 v90, v64, v35
	v_add_f16_e64 v91, v161, v163
	v_sub_f16_e32 v35, v35, v64
	v_sub_f16_e64 v64, v163, v161
	v_add_f16_e32 v101, v82, v80
	v_add_f16_e32 v102, v83, v81
	v_sub_f16_e32 v107, v83, v81
	v_sub_f16_e32 v81, v81, v85
	;; [unrolled: 1-line block ×3, first 2 shown]
	v_add_f16_e32 v111, v34, v37
	v_sub_f16_e32 v114, v34, v37
	v_sub_f16_e32 v37, v37, v60
	v_add_f16_e32 v119, v89, v87
	v_mul_f16_e64 v175, v93, v169
	v_mul_f16_e64 v176, v63, v169
	v_mul_f16_e64 v177, v94, v171
	v_mul_f16_e64 v178, v68, v171
	v_mul_f16_e64 v184, v97, v167
	v_mul_f16_e64 v185, v67, v167
	v_mul_f16_e64 v189, v104, v171
	v_mul_f16_e64 v191, v108, v168
	v_mul_f16_e64 v195, v113, v166
	v_mul_f16_e64 v198, v117, v171
	v_mul_f16_e64 v24, v36, v168
	v_mul_f16_e64 v201, v123, v167
	v_fmac_f16_e32 v28, v104, v1
	v_fmac_f16_e64 v192, v108, v3
	v_fmac_f16_e64 v196, v113, v56
	v_fmac_f16_e32 v22, v117, v1
	v_fmac_f16_e32 v25, v123, v55
	v_sub_f16_e32 v104, v82, v80
	v_sub_f16_e32 v80, v80, v84
	v_sub_f16_e32 v82, v84, v82
	v_add_f16_e32 v108, v33, v30
	v_sub_f16_e32 v113, v33, v30
	v_sub_f16_e32 v34, v60, v34
	v_sub_f16_e32 v30, v30, v5
	v_add_f16_e32 v117, v88, v86
	;; [unrolled: 4-line block ×3, first 2 shown]
	v_add_f16_e64 v128, v64, v66
	v_sub_f16_e64 v129, v35, v31
	v_sub_f16_e64 v130, v64, v66
	v_sub_f16_e32 v31, v31, v61
	v_sub_f16_e32 v66, v66, v62
	v_add_f16_e32 v84, v84, v101
	v_add_f16_e32 v85, v85, v102
	;; [unrolled: 1-line block ×3, first 2 shown]
	v_mul_f16_e32 v81, 0x3a52, v81
	v_mul_f16_e32 v102, 0x2b26, v83
	;; [unrolled: 1-line block ×4, first 2 shown]
	v_add_f16_e32 v91, v91, v119
	v_mul_f16_e64 v179, v95, v170
	v_mul_f16_e64 v181, v65, v170
	;; [unrolled: 1-line block ×5, first 2 shown]
	v_fma_f16 v63, v63, v0, -v175
	v_fmac_f16_e64 v176, v93, v0
	v_fma_f16 v68, v68, v1, -v177
	v_fmac_f16_e64 v178, v94, v1
	;; [unrolled: 2-line block ×3, first 2 shown]
	v_fma_f16 v72, v72, v56, -v186
	v_fmac_f16_e32 v24, v121, v3
	v_sub_f16_e32 v33, v5, v33
	v_sub_f16_e32 v121, v88, v86
	;; [unrolled: 1-line block ×6, first 2 shown]
	v_add_f16_e32 v5, v108, v5
	v_mul_f16_e32 v80, 0x3a52, v80
	v_mul_f16_e32 v101, 0x2b26, v82
	;; [unrolled: 1-line block ×4, first 2 shown]
	v_add_f16_e32 v90, v90, v117
	v_add_f16_e32 v61, v127, v61
	v_add_f16_e64 v62, v128, v62
	v_mul_f16_e32 v87, 0x3a52, v87
	v_mul_f16_e32 v119, 0x2b26, v89
	v_mul_f16_e64 v127, 0xb846, v129
	v_mul_f16_e64 v128, 0xb846, v130
	;; [unrolled: 1-line block ×4, first 2 shown]
	v_add_f16_e32 v8, v8, v84
	v_add_f16_e32 v47, v47, v85
	v_fmamk_f16 v83, v83, 0x2b26, v81
	v_fma_f16 v102, v107, 0x39e0, -v102
	v_fma_f16 v81, v107, 0xb9e0, -v81
	v_fmamk_f16 v107, v34, 0x3574, v111
	v_fma_f16 v37, v37, 0x3b00, -v111
	v_fma_f16 v34, v34, 0xb574, -v114
	v_add_f16_e32 v53, v53, v91
	v_fma_f16 v65, v65, v2, -v179
	v_fmac_f16_e64 v181, v95, v2
	v_fma_f16 v70, v70, v3, -v182
	v_fmac_f16_e64 v183, v96, v3
	v_add_f16_e32 v92, v63, v72
	v_add_f16_e64 v93, v176, v187
	v_add_f16_e32 v94, v68, v67
	v_add_f16_e64 v95, v178, v185
	v_mul_f16_e32 v86, 0x3a52, v86
	v_mul_f16_e32 v117, 0x2b26, v88
	v_fmamk_f16 v82, v82, 0x2b26, v80
	v_fma_f16 v101, v104, 0x39e0, -v101
	v_fma_f16 v80, v104, 0xb9e0, -v80
	v_fmamk_f16 v104, v33, 0x3574, v108
	v_fma_f16 v30, v30, 0x3b00, -v108
	v_fma_f16 v33, v33, 0xb574, -v113
	v_add_f16_e32 v9, v9, v90
	v_fmamk_f16 v89, v89, 0x2b26, v87
	v_fma_f16 v111, v123, 0x39e0, -v119
	v_fma_f16 v87, v123, 0xb9e0, -v87
	v_fmamk_f16 v113, v35, 0x3574, v127
	v_fma_f16 v114, 0x3574, v64, v128
	v_fma_f16 v31, v31, 0x3b00, -v127
	v_fma_f16 v66, v66, 0x3b00, -v128
	;; [unrolled: 1-line block ×4, first 2 shown]
	v_fmamk_f16 v84, v84, 0xbcab, v8
	v_fmamk_f16 v85, v85, 0xbcab, v47
	v_fmac_f16_e32 v107, 0x370e, v60
	v_fmac_f16_e32 v37, 0x370e, v60
	;; [unrolled: 1-line block ×3, first 2 shown]
	v_fmamk_f16 v60, v91, 0xbcab, v53
	v_sub_f16_e32 v63, v63, v72
	v_sub_f16_e64 v72, v176, v187
	v_sub_f16_e32 v67, v68, v67
	v_sub_f16_e64 v68, v178, v185
	v_add_f16_e32 v96, v65, v70
	v_add_f16_e64 v97, v181, v183
	v_sub_f16_e32 v65, v70, v65
	v_sub_f16_e64 v70, v183, v181
	v_add_f16_e64 v133, v94, v92
	v_add_f16_e64 v135, v95, v93
	v_fmamk_f16 v88, v88, 0x2b26, v86
	v_fma_f16 v108, v121, 0x39e0, -v117
	v_fma_f16 v86, v121, 0xb9e0, -v86
	v_fmac_f16_e32 v104, 0x370e, v5
	v_fmac_f16_e32 v30, 0x370e, v5
	;; [unrolled: 1-line block ×3, first 2 shown]
	v_fmamk_f16 v5, v90, 0xbcab, v9
	v_fmac_f16_e32 v113, 0x370e, v61
	v_fmac_f16_e32 v114, 0x370e, v62
	;; [unrolled: 1-line block ×6, first 2 shown]
	v_add_f16_e32 v61, v82, v84
	v_add_f16_e32 v62, v83, v85
	;; [unrolled: 1-line block ×8, first 2 shown]
	v_sub_f16_e64 v137, v94, v92
	v_sub_f16_e64 v142, v95, v93
	v_sub_f16_e32 v92, v92, v96
	v_sub_f16_e32 v93, v93, v97
	;; [unrolled: 1-line block ×4, first 2 shown]
	v_add_f16_e64 v143, v65, v67
	v_add_f16_e64 v144, v70, v68
	v_sub_f16_e64 v145, v65, v67
	v_sub_f16_e64 v146, v70, v68
	v_add_f16_e32 v82, v101, v84
	v_add_f16_e32 v84, v88, v5
	;; [unrolled: 1-line block ×5, first 2 shown]
	v_sub_f16_e32 v87, v62, v104
	v_add_f16_e32 v90, v34, v80
	v_sub_f16_e32 v34, v80, v34
	v_sub_f16_e32 v80, v61, v107
	v_add_f16_e32 v62, v104, v62
	v_sub_f16_e32 v104, v60, v35
	v_add_f16_e32 v35, v35, v60
	v_sub_f16_e32 v60, v63, v65
	v_sub_f16_e32 v61, v72, v70
	;; [unrolled: 1-line block ×3, first 2 shown]
	v_add_f16_e64 v67, v96, v133
	v_add_f16_e64 v70, v97, v135
	v_sub_f16_e32 v68, v68, v72
	v_sub_f16_e32 v91, v81, v33
	;; [unrolled: 1-line block ×3, first 2 shown]
	v_add_f16_e32 v102, v30, v83
	v_add_f16_e32 v37, v37, v82
	v_sub_f16_e32 v30, v83, v30
	v_add_f16_e32 v33, v33, v81
	v_add_f16_e32 v81, v114, v84
	v_sub_f16_e32 v82, v85, v113
	v_add_f16_e32 v83, v64, v5
	v_sub_f16_e32 v107, v88, v66
	v_add_f16_e32 v108, v31, v89
	v_add_f16_e32 v66, v66, v88
	v_sub_f16_e32 v31, v89, v31
	v_sub_f16_e32 v5, v5, v64
	;; [unrolled: 1-line block ×3, first 2 shown]
	v_add_f16_e32 v84, v113, v85
	v_add_f16_e32 v6, v6, v67
	;; [unrolled: 1-line block ×3, first 2 shown]
	v_mul_f16_e32 v85, 0x3a52, v92
	v_mul_f16_e32 v88, 0x3a52, v93
	;; [unrolled: 1-line block ×4, first 2 shown]
	v_mul_f16_e64 v93, 0xb846, v145
	v_mul_f16_e64 v96, 0xb846, v146
	v_mul_f16_e32 v97, 0x3b00, v65
	v_mul_f16_e32 v111, 0x3b00, v68
	v_add_f16_e64 v63, v143, v63
	v_add_f16_e64 v72, v144, v72
	v_fmamk_f16 v67, v67, 0xbcab, v6
	v_fmamk_f16 v70, v70, 0xbcab, v20
	;; [unrolled: 1-line block ×4, first 2 shown]
	v_fma_f16 v89, v137, 0x39e0, -v89
	v_fma_f16 v92, v142, 0x39e0, -v92
	v_fma_f16 v85, v137, 0xb9e0, -v85
	v_fma_f16 v88, v142, 0xb9e0, -v88
	v_fmamk_f16 v113, v60, 0x3574, v93
	v_fmamk_f16 v114, v61, 0x3574, v96
	v_fma_f16 v68, v68, 0x3b00, -v96
	v_fma_f16 v60, v60, 0xb574, -v97
	;; [unrolled: 1-line block ×8, first 2 shown]
	v_add_f16_e32 v93, v94, v67
	v_add_f16_e32 v94, v95, v70
	;; [unrolled: 1-line block ×6, first 2 shown]
	v_fmac_f16_e32 v114, 0x370e, v72
	v_fmac_f16_e32 v61, 0x370e, v72
	;; [unrolled: 1-line block ×4, first 2 shown]
	v_fma_f16 v76, v76, v2, -v190
	v_fma_f16 v71, v71, v3, -v191
	v_fmac_f16_e32 v113, 0x370e, v63
	v_fmac_f16_e32 v65, 0x370e, v63
	v_add_f16_e32 v63, v114, v93
	v_add_f16_e32 v85, v61, v67
	v_sub_f16_e32 v88, v70, v60
	v_sub_f16_e32 v95, v89, v68
	v_add_f16_e32 v68, v68, v89
	v_sub_f16_e32 v67, v67, v61
	v_add_f16_e32 v70, v60, v70
	;; [unrolled: 2-line block ×3, first 2 shown]
	v_add_f16_e64 v61, v27, v196
	v_sub_f16_e32 v73, v74, v73
	v_add_f16_e32 v74, v69, v78
	v_add_f16_e64 v93, v28, v194
	v_sub_f16_e32 v72, v94, v113
	v_add_f16_e32 v96, v65, v92
	v_sub_f16_e32 v65, v92, v65
	v_add_f16_e32 v92, v113, v94
	v_sub_f16_e64 v27, v27, v196
	v_sub_f16_e32 v69, v69, v78
	v_sub_f16_e64 v28, v28, v194
	v_add_f16_e32 v78, v76, v71
	v_add_f16_e64 v94, v29, v192
	v_sub_f16_e32 v71, v71, v76
	v_sub_f16_e64 v29, v192, v29
	v_add_f16_e32 v76, v74, v60
	v_add_f16_e32 v97, v93, v61
	v_sub_f16_e32 v111, v74, v60
	v_sub_f16_e32 v113, v93, v61
	v_sub_f16_e32 v60, v60, v78
	v_sub_f16_e32 v61, v61, v94
	v_sub_f16_e32 v74, v78, v74
	v_sub_f16_e32 v93, v94, v93
	v_add_f16_e32 v114, v71, v69
	v_add_f16_e32 v117, v29, v28
	v_sub_f16_e32 v119, v71, v69
	v_sub_f16_e32 v121, v29, v28
	;; [unrolled: 1-line block ×3, first 2 shown]
	v_add_f16_e32 v76, v78, v76
	v_add_f16_e32 v78, v94, v97
	v_sub_f16_e32 v28, v28, v27
	v_sub_f16_e32 v71, v73, v71
	;; [unrolled: 1-line block ×3, first 2 shown]
	v_add_f16_e32 v73, v114, v73
	v_add_f16_e32 v27, v117, v27
	;; [unrolled: 1-line block ×4, first 2 shown]
	v_mul_f16_e32 v60, 0x3a52, v60
	v_mul_f16_e32 v61, 0x3a52, v61
	;; [unrolled: 1-line block ×8, first 2 shown]
	v_fmamk_f16 v76, v76, 0xbcab, v7
	v_fmamk_f16 v78, v78, 0xbcab, v19
	;; [unrolled: 1-line block ×4, first 2 shown]
	v_fma_f16 v94, v111, 0x39e0, -v94
	v_fma_f16 v97, v113, 0x39e0, -v97
	;; [unrolled: 1-line block ×4, first 2 shown]
	v_fmamk_f16 v111, v71, 0x3574, v114
	v_fmamk_f16 v113, v29, 0x3574, v117
	v_fma_f16 v71, v71, 0xb574, -v119
	v_fma_f16 v29, v29, 0xb574, -v121
	;; [unrolled: 1-line block ×6, first 2 shown]
	v_add_f16_e32 v60, v60, v76
	v_add_f16_e32 v61, v61, v78
	v_fmac_f16_e32 v29, 0x370e, v27
	v_fmac_f16_e32 v71, 0x370e, v73
	v_fma_f16 v77, v77, v2, -v199
	v_fma_f16 v36, v36, v3, -v200
	;; [unrolled: 1-line block ×3, first 2 shown]
	v_add_f16_e32 v74, v74, v76
	v_add_f16_e32 v93, v93, v78
	;; [unrolled: 1-line block ×5, first 2 shown]
	v_sub_f16_e32 v78, v61, v71
	v_sub_f16_e32 v29, v60, v29
	v_add_f16_e32 v71, v71, v61
	v_add_f16_e32 v60, v75, v43
	;; [unrolled: 1-line block ×3, first 2 shown]
	v_sub_f16_e32 v21, v21, v26
	v_add_f16_e32 v26, v32, v79
	v_fma_f16 v69, v69, 0x3b00, -v114
	v_fmac_f16_e32 v28, 0x370e, v27
	v_sub_f16_e32 v43, v75, v43
	v_add_f16_e32 v75, v22, v25
	v_sub_f16_e32 v32, v32, v79
	v_sub_f16_e32 v22, v22, v25
	v_add_f16_e32 v25, v77, v36
	v_add_f16_e32 v79, v23, v24
	v_sub_f16_e32 v23, v24, v23
	v_add_f16_e32 v24, v26, v60
	v_fmac_f16_e32 v111, 0x370e, v73
	v_fmac_f16_e32 v113, 0x370e, v27
	;; [unrolled: 1-line block ×3, first 2 shown]
	v_sub_f16_e32 v114, v94, v28
	v_add_f16_e32 v28, v28, v94
	v_sub_f16_e32 v36, v36, v77
	v_add_f16_e32 v77, v75, v61
	v_sub_f16_e32 v94, v26, v60
	v_sub_f16_e32 v60, v60, v25
	;; [unrolled: 1-line block ×3, first 2 shown]
	v_add_f16_e32 v24, v25, v24
	v_add_f16_e32 v27, v113, v74
	v_sub_f16_e32 v73, v93, v111
	v_add_f16_e32 v117, v69, v97
	v_sub_f16_e32 v69, v97, v69
	v_sub_f16_e32 v74, v74, v113
	v_add_f16_e32 v93, v111, v93
	v_sub_f16_e32 v97, v75, v61
	v_sub_f16_e32 v61, v61, v79
	;; [unrolled: 1-line block ×3, first 2 shown]
	v_add_f16_e32 v111, v36, v32
	v_add_f16_e32 v113, v23, v22
	v_sub_f16_e32 v119, v36, v32
	v_sub_f16_e32 v121, v23, v22
	;; [unrolled: 1-line block ×3, first 2 shown]
	v_add_f16_e32 v25, v79, v77
	v_sub_f16_e32 v22, v22, v21
	v_add_f16_e32 v4, v4, v24
	v_mul_f16_e32 v60, 0x3a52, v60
	v_mul_f16_e32 v77, 0x2b26, v26
	v_sub_f16_e32 v36, v43, v36
	v_sub_f16_e32 v23, v21, v23
	v_add_f16_e32 v43, v111, v43
	v_add_f16_e32 v21, v113, v21
	;; [unrolled: 1-line block ×3, first 2 shown]
	v_mul_f16_e32 v61, 0x3a52, v61
	v_mul_f16_e32 v79, 0x2b26, v75
	;; [unrolled: 1-line block ×6, first 2 shown]
	v_fmamk_f16 v24, v24, 0xbcab, v4
	v_fmamk_f16 v26, v26, 0x2b26, v60
	v_fma_f16 v77, v94, 0x39e0, -v77
	v_fma_f16 v60, v94, 0xb9e0, -v60
	v_fmamk_f16 v25, v25, 0xbcab, v18
	v_fmamk_f16 v75, v75, 0x2b26, v61
	v_fma_f16 v79, v97, 0x39e0, -v79
	v_fma_f16 v61, v97, 0xb9e0, -v61
	;; [unrolled: 4-line block ×3, first 2 shown]
	v_add_f16_e32 v26, v26, v24
	v_add_f16_e32 v77, v77, v24
	;; [unrolled: 1-line block ×3, first 2 shown]
	v_lshrrev_b32_e32 v60, 2, v160
	v_add_f16_e32 v75, v75, v25
	v_add_f16_e32 v79, v79, v25
	;; [unrolled: 1-line block ×3, first 2 shown]
	v_fmac_f16_e32 v23, 0x370e, v21
	v_fmac_f16_e32 v36, 0x370e, v43
	v_mul_u32_u24_e32 v60, 28, v60
	v_fma_f16 v32, v32, 0x3b00, -v111
	v_fma_f16 v22, v22, 0x3b00, -v113
	v_add_f16_e32 v111, v23, v24
	v_sub_f16_e32 v113, v25, v36
	v_sub_f16_e32 v23, v24, v23
	v_add_f16_e32 v24, v36, v25
	v_or_b32_e32 v25, v60, v12
	v_fmac_f16_e32 v97, 0x370e, v21
	v_fmac_f16_e32 v22, 0x370e, v21
	v_pack_b32_f16 v8, v8, v47
	v_pack_b32_f16 v36, v90, v91
	v_lshlrev_b32_e32 v176, 2, v25
	v_lshrrev_b32_e32 v25, 2, v46
	v_add_f16_e32 v21, v97, v26
	v_sub_f16_e32 v60, v26, v97
	v_pack_b32_f16 v26, v86, v87
	v_pack_b32_f16 v47, v101, v102
	v_mul_u32_u24_e32 v25, 28, v25
	v_pack_b32_f16 v30, v37, v30
	v_pack_b32_f16 v33, v34, v33
	ds_store_2addr_b32 v176, v8, v26 offset1:4
	v_lshrrev_b32_e32 v26, 2, v40
	v_or_b32_e32 v8, v25, v12
	v_pack_b32_f16 v25, v80, v62
	ds_store_2addr_b32 v176, v36, v47 offset0:8 offset1:12
	ds_store_2addr_b32 v176, v30, v33 offset0:16 offset1:20
	v_pack_b32_f16 v30, v83, v104
	v_mul_u32_u24_e32 v26, 28, v26
	v_lshlrev_b32_e32 v172, 2, v8
	v_pack_b32_f16 v8, v9, v53
	v_pack_b32_f16 v9, v81, v82
	;; [unrolled: 1-line block ×5, first 2 shown]
	ds_store_b32 v176, v25 offset:96
	ds_store_2addr_b32 v172, v8, v9 offset1:4
	ds_store_2addr_b32 v172, v30, v33 offset0:8 offset1:12
	ds_store_2addr_b32 v172, v31, v5 offset0:16 offset1:20
	v_lshrrev_b32_e32 v8, 2, v41
	v_or_b32_e32 v25, v26, v12
	v_pack_b32_f16 v5, v64, v84
	v_pack_b32_f16 v6, v6, v20
	;; [unrolled: 1-line block ×3, first 2 shown]
	v_mul_u32_u24_e32 v8, 28, v8
	v_lshlrev_b32_e32 v53, 2, v25
	ds_store_b32 v172, v5 offset:96
	ds_store_2addr_b32 v53, v6, v9 offset1:4
	v_or_b32_e32 v5, v8, v12
	v_lshrrev_b32_e32 v8, 2, v42
	v_fmac_f16_e32 v94, 0x370e, v43
	v_pack_b32_f16 v20, v85, v88
	v_pack_b32_f16 v25, v95, v96
	;; [unrolled: 1-line block ×3, first 2 shown]
	v_mul_u32_u24_e32 v8, 28, v8
	v_fmac_f16_e32 v32, 0x370e, v43
	v_pack_b32_f16 v26, v68, v65
	v_pack_b32_f16 v30, v67, v70
	v_lshlrev_b32_e32 v164, 2, v5
	v_pack_b32_f16 v5, v7, v19
	v_pack_b32_f16 v7, v27, v73
	v_sub_f16_e32 v43, v75, v94
	ds_store_2addr_b32 v53, v20, v25 offset0:8 offset1:12
	ds_store_2addr_b32 v53, v26, v30 offset0:16 offset1:20
	v_pack_b32_f16 v9, v76, v78
	v_pack_b32_f16 v19, v114, v117
	ds_store_b32 v53, v6 offset:96
	v_or_b32_e32 v6, v8, v12
	v_sub_f16_e32 v119, v77, v22
	v_add_f16_e32 v121, v32, v79
	v_pack_b32_f16 v20, v28, v69
	v_pack_b32_f16 v25, v29, v71
	v_add_f16_e32 v22, v22, v77
	v_sub_f16_e32 v32, v79, v32
	v_add_f16_e32 v61, v94, v75
	ds_store_2addr_b32 v164, v5, v7 offset1:4
	ds_store_2addr_b32 v164, v9, v19 offset0:8 offset1:12
	ds_store_2addr_b32 v164, v20, v25 offset0:16 offset1:20
	v_pack_b32_f16 v5, v74, v93
	v_lshlrev_b32_e32 v165, 2, v6
	v_pack_b32_f16 v4, v4, v18
	v_pack_b32_f16 v6, v21, v43
	;; [unrolled: 1-line block ×7, first 2 shown]
	ds_store_b32 v164, v5 offset:96
	ds_store_2addr_b32 v165, v4, v6 offset1:4
	ds_store_2addr_b32 v165, v7, v8 offset0:8 offset1:12
	ds_store_2addr_b32 v165, v9, v12 offset0:16 offset1:20
	ds_store_b32 v165, v18 offset:96
	v_add_nc_u32_e32 v6, 0x1600, v98
	s_waitcnt lgkmcnt(0)
	s_barrier
	buffer_gl0_inv
	ds_load_2addr_b32 v[36:37], v98 offset1:56
	ds_load_2addr_b32 v[4:5], v38 offset0:128 offset1:212
	ds_load_2addr_b32 v[34:35], v17 offset0:12 offset1:68
	;; [unrolled: 1-line block ×16, first 2 shown]
	v_lshlrev_b32_e32 v78, 2, v160
	v_lshlrev_b32_e32 v43, 2, v46
	;; [unrolled: 1-line block ×5, first 2 shown]
	s_and_saveexec_b32 s1, s0
	s_cbranch_execz .LBB0_11
; %bb.10:
	ds_load_b32 v60, v98 offset:3808
	ds_load_b32 v44, v98 offset:7728
	s_waitcnt lgkmcnt(1)
	v_lshrrev_b32_e32 v61, 16, v60
	s_waitcnt lgkmcnt(0)
	v_lshrrev_b32_e32 v45, 16, v44
.LBB0_11:
	s_or_b32 exec_lo, exec_lo, s1
	v_add_co_u32 v62, s1, 0xffffffe4, v160
	s_delay_alu instid0(VALU_DEP_1) | instskip(SKIP_1) | instid1(VALU_DEP_3)
	v_add_co_ci_u32_e64 v63, null, 0, -1, s1
	v_cmp_lt_u16_e64 s1, 27, v160
	v_cndmask_b32_e64 v62, v62, v160, s0
	s_delay_alu instid0(VALU_DEP_3) | instskip(NEXT) | instid1(VALU_DEP_3)
	v_cndmask_b32_e64 v63, v63, 0, s0
	v_cndmask_b32_e64 v64, 0, 56, s1
	s_delay_alu instid0(VALU_DEP_1) | instskip(SKIP_1) | instid1(VALU_DEP_4)
	v_add_lshl_u32 v99, v62, v64, 2
	v_lshrrev_b16 v64, 2, v46
	v_lshlrev_b64 v[62:63], 2, v[62:63]
	s_delay_alu instid0(VALU_DEP_2) | instskip(NEXT) | instid1(VALU_DEP_2)
	v_and_b32_e32 v64, 63, v64
	v_add_co_u32 v62, s1, s4, v62
	s_delay_alu instid0(VALU_DEP_1) | instskip(NEXT) | instid1(VALU_DEP_3)
	v_add_co_ci_u32_e64 v63, s1, s5, v63, s1
	v_mul_lo_u16 v64, v64, 37
	global_load_b32 v202, v[62:63], off offset:96
	v_lshrrev_b16 v74, 8, v64
	s_delay_alu instid0(VALU_DEP_1) | instskip(NEXT) | instid1(VALU_DEP_1)
	v_mul_lo_u16 v64, v74, 28
	v_sub_nc_u16 v75, v46, v64
	v_lshrrev_b16 v46, 2, v58
	s_delay_alu instid0(VALU_DEP_2) | instskip(NEXT) | instid1(VALU_DEP_2)
	v_and_b32_e32 v75, 0xff, v75
	v_and_b32_e32 v46, 0xffff, v46
	s_delay_alu instid0(VALU_DEP_1) | instskip(NEXT) | instid1(VALU_DEP_1)
	v_mul_u32_u24_e32 v46, 0x4925, v46
	v_lshrrev_b32_e32 v76, 17, v46
	s_delay_alu instid0(VALU_DEP_1) | instskip(NEXT) | instid1(VALU_DEP_1)
	v_mul_lo_u16 v46, v76, 28
	v_sub_nc_u16 v77, v58, v46
	v_lshrrev_b16 v46, 2, v57
	s_delay_alu instid0(VALU_DEP_1) | instskip(NEXT) | instid1(VALU_DEP_1)
	v_and_b32_e32 v46, 0xffff, v46
	v_mul_u32_u24_e32 v46, 0x4925, v46
	s_delay_alu instid0(VALU_DEP_1) | instskip(NEXT) | instid1(VALU_DEP_1)
	v_lshrrev_b32_e32 v79, 17, v46
	v_mul_lo_u16 v46, v79, 28
	s_delay_alu instid0(VALU_DEP_1) | instskip(SKIP_1) | instid1(VALU_DEP_2)
	v_sub_nc_u16 v80, v57, v46
	v_lshrrev_b16 v46, 2, v59
	v_and_b32_e32 v91, 0xffff, v80
	s_delay_alu instid0(VALU_DEP_2) | instskip(NEXT) | instid1(VALU_DEP_2)
	v_and_b32_e32 v46, 0xffff, v46
	v_lshlrev_b32_e32 v91, 2, v91
	s_delay_alu instid0(VALU_DEP_2) | instskip(NEXT) | instid1(VALU_DEP_1)
	v_mul_u32_u24_e32 v46, 0x4925, v46
	v_lshrrev_b32_e32 v81, 17, v46
	s_delay_alu instid0(VALU_DEP_1) | instskip(NEXT) | instid1(VALU_DEP_1)
	v_mul_lo_u16 v46, v81, 28
	v_sub_nc_u16 v82, v59, v46
	v_add_nc_u16 v46, v160, 0x1f8
	s_delay_alu instid0(VALU_DEP_2) | instskip(NEXT) | instid1(VALU_DEP_2)
	v_and_b32_e32 v92, 0xffff, v82
	v_lshrrev_b16 v57, 2, v46
	s_delay_alu instid0(VALU_DEP_2) | instskip(NEXT) | instid1(VALU_DEP_2)
	v_lshlrev_b32_e32 v92, 2, v92
	v_and_b32_e32 v57, 0xffff, v57
	s_delay_alu instid0(VALU_DEP_1) | instskip(NEXT) | instid1(VALU_DEP_1)
	v_mul_u32_u24_e32 v57, 0x4925, v57
	v_lshrrev_b32_e32 v72, 17, v57
	s_delay_alu instid0(VALU_DEP_1) | instskip(NEXT) | instid1(VALU_DEP_1)
	v_mul_lo_u16 v57, v72, 28
	v_sub_nc_u16 v73, v46, v57
	v_add_nc_u16 v46, v160, 0x230
	s_delay_alu instid0(VALU_DEP_2) | instskip(NEXT) | instid1(VALU_DEP_2)
	v_and_b32_e32 v93, 0xffff, v73
	v_lshrrev_b16 v57, 2, v46
	s_delay_alu instid0(VALU_DEP_2) | instskip(NEXT) | instid1(VALU_DEP_2)
	v_lshlrev_b32_e32 v93, 2, v93
	v_and_b32_e32 v57, 0xffff, v57
	s_delay_alu instid0(VALU_DEP_1) | instskip(NEXT) | instid1(VALU_DEP_1)
	;; [unrolled: 13-line block ×7, first 2 shown]
	v_mul_u32_u24_e32 v57, 0x4925, v57
	v_lshrrev_b32_e32 v58, 17, v57
	s_delay_alu instid0(VALU_DEP_1) | instskip(NEXT) | instid1(VALU_DEP_1)
	v_mul_lo_u16 v57, v58, 28
	v_sub_nc_u16 v59, v46, v57
	v_or_b32_e32 v57, 0x380, v160
	s_delay_alu instid0(VALU_DEP_2) | instskip(NEXT) | instid1(VALU_DEP_2)
	v_and_b32_e32 v102, 0xffff, v59
	v_lshrrev_b16 v46, 2, v57
	s_delay_alu instid0(VALU_DEP_2) | instskip(NEXT) | instid1(VALU_DEP_2)
	v_lshlrev_b32_e32 v102, 2, v102
	v_and_b32_e32 v46, 0xffff, v46
	s_waitcnt vmcnt(0)
	v_lshrrev_b32_e32 v221, 16, v202
	s_delay_alu instid0(VALU_DEP_2) | instskip(NEXT) | instid1(VALU_DEP_1)
	v_mul_u32_u24_e32 v46, 0x4925, v46
	v_lshrrev_b32_e32 v46, 17, v46
	s_delay_alu instid0(VALU_DEP_1) | instskip(NEXT) | instid1(VALU_DEP_1)
	v_mul_lo_u16 v83, v46, 28
	v_sub_nc_u16 v57, v57, v83
	v_add_nc_u16 v83, v160, 0x3b8
	s_delay_alu instid0(VALU_DEP_2) | instskip(NEXT) | instid1(VALU_DEP_2)
	v_and_b32_e32 v104, 0xffff, v57
	v_lshrrev_b16 v84, 2, v83
	s_delay_alu instid0(VALU_DEP_2) | instskip(NEXT) | instid1(VALU_DEP_2)
	v_lshlrev_b32_e32 v104, 2, v104
	v_and_b32_e32 v84, 0xffff, v84
	s_delay_alu instid0(VALU_DEP_1) | instskip(NEXT) | instid1(VALU_DEP_1)
	v_mul_u32_u24_e32 v84, 0x4925, v84
	v_lshrrev_b32_e32 v84, 17, v84
	s_delay_alu instid0(VALU_DEP_1) | instskip(NEXT) | instid1(VALU_DEP_1)
	v_mul_lo_u16 v84, v84, 28
	v_sub_nc_u16 v83, v83, v84
	v_lshlrev_b32_e32 v84, 2, v75
	s_delay_alu instid0(VALU_DEP_2) | instskip(SKIP_3) | instid1(VALU_DEP_2)
	v_and_b32_e32 v83, 0xffff, v83
	global_load_b32 v201, v84, s[4:5] offset:96
	v_lshrrev_b16 v84, 2, v40
	v_lshlrev_b32_e32 v83, 2, v83
	v_and_b32_e32 v84, 63, v84
	s_delay_alu instid0(VALU_DEP_1) | instskip(NEXT) | instid1(VALU_DEP_1)
	v_mul_lo_u16 v84, v84, 37
	v_lshrrev_b16 v84, 8, v84
	s_delay_alu instid0(VALU_DEP_1) | instskip(NEXT) | instid1(VALU_DEP_1)
	v_mul_lo_u16 v85, v84, 28
	v_sub_nc_u16 v85, v40, v85
	s_delay_alu instid0(VALU_DEP_1) | instskip(NEXT) | instid1(VALU_DEP_1)
	v_and_b32_e32 v85, 0xff, v85
	v_lshlrev_b32_e32 v86, 2, v85
	global_load_b32 v200, v86, s[4:5] offset:96
	v_lshrrev_b16 v86, 2, v41
	s_delay_alu instid0(VALU_DEP_1) | instskip(NEXT) | instid1(VALU_DEP_1)
	v_and_b32_e32 v86, 63, v86
	v_mul_lo_u16 v86, v86, 37
	s_delay_alu instid0(VALU_DEP_1) | instskip(NEXT) | instid1(VALU_DEP_1)
	v_lshrrev_b16 v86, 8, v86
	v_mul_lo_u16 v87, v86, 28
	s_delay_alu instid0(VALU_DEP_1) | instskip(NEXT) | instid1(VALU_DEP_1)
	v_sub_nc_u16 v87, v41, v87
	v_and_b32_e32 v87, 0xff, v87
	s_delay_alu instid0(VALU_DEP_1) | instskip(SKIP_2) | instid1(VALU_DEP_1)
	v_lshlrev_b32_e32 v88, 2, v87
	global_load_b32 v199, v88, s[4:5] offset:96
	v_lshrrev_b16 v88, 2, v42
	v_and_b32_e32 v88, 0xffff, v88
	s_delay_alu instid0(VALU_DEP_1) | instskip(NEXT) | instid1(VALU_DEP_1)
	v_mul_u32_u24_e32 v88, 0x4925, v88
	v_lshrrev_b32_e32 v88, 17, v88
	s_delay_alu instid0(VALU_DEP_1) | instskip(NEXT) | instid1(VALU_DEP_1)
	v_mul_lo_u16 v89, v88, 28
	v_sub_nc_u16 v89, v42, v89
	s_delay_alu instid0(VALU_DEP_1) | instskip(NEXT) | instid1(VALU_DEP_1)
	v_and_b32_e32 v90, 0xffff, v89
	v_lshlrev_b32_e32 v90, 2, v90
	global_load_b32 v197, v90, s[4:5] offset:96
	v_and_b32_e32 v90, 0xffff, v77
	s_delay_alu instid0(VALU_DEP_1)
	v_lshlrev_b32_e32 v90, 2, v90
	s_clause 0x2
	global_load_b32 v198, v90, s[4:5] offset:96
	global_load_b32 v194, v91, s[4:5] offset:96
	;; [unrolled: 1-line block ×3, first 2 shown]
	s_waitcnt lgkmcnt(15)
	v_lshrrev_b32_e32 v90, 16, v5
	v_mul_f16_e64 v91, v5, v221
	s_delay_alu instid0(VALU_DEP_1) | instskip(SKIP_1) | instid1(VALU_DEP_1)
	v_fmac_f16_e64 v91, v90, v202
	v_mul_f16_e64 v90, v90, v221
	v_fma_f16 v5, v5, v202, -v90
	v_lshrrev_b32_e32 v90, 16, v36
	s_delay_alu instid0(VALU_DEP_2) | instskip(NEXT) | instid1(VALU_DEP_2)
	v_sub_f16_e32 v5, v36, v5
	v_sub_f16_e32 v91, v90, v91
	s_delay_alu instid0(VALU_DEP_1) | instskip(NEXT) | instid1(VALU_DEP_3)
	v_fma_f16 v90, v90, 2.0, -v91
	v_pack_b32_f16 v91, v5, v91
	v_fma_f16 v5, v36, 2.0, -v5
	v_lshrrev_b16 v36, 2, v52
	s_delay_alu instid0(VALU_DEP_2) | instskip(NEXT) | instid1(VALU_DEP_2)
	v_pack_b32_f16 v5, v5, v90
	v_and_b32_e32 v36, 0xffff, v36
	s_delay_alu instid0(VALU_DEP_1) | instskip(NEXT) | instid1(VALU_DEP_1)
	v_mul_u32_u24_e32 v36, 0x4925, v36
	v_lshrrev_b32_e32 v36, 17, v36
	s_delay_alu instid0(VALU_DEP_1) | instskip(NEXT) | instid1(VALU_DEP_1)
	v_mul_lo_u16 v90, v36, 28
	v_sub_nc_u16 v90, v52, v90
	s_delay_alu instid0(VALU_DEP_1) | instskip(NEXT) | instid1(VALU_DEP_1)
	v_and_b32_e32 v92, 0xffff, v90
	v_lshlrev_b32_e32 v92, 2, v92
	s_clause 0x8
	global_load_b32 v196, v92, s[4:5] offset:96
	global_load_b32 v195, v93, s[4:5] offset:96
	;; [unrolled: 1-line block ×9, first 2 shown]
	scratch_store_b32 off, v83, off offset:136 ; 4-byte Folded Spill
	global_load_b32 v178, v83, s[4:5] offset:96
	s_waitcnt vmcnt(0) lgkmcnt(0)
	s_waitcnt_vscnt null, 0x0
	s_barrier
	buffer_gl0_inv
	ds_store_2addr_b32 v99, v5, v91 offset1:28
	v_and_b32_e32 v5, 0xffff, v74
	s_delay_alu instid0(VALU_DEP_1) | instskip(NEXT) | instid1(VALU_DEP_1)
	v_mul_u32_u24_e32 v5, 56, v5
	v_add_lshl_u32 v75, v5, v75, 2
	v_lshrrev_b32_e32 v5, 16, v34
	scratch_store_b32 off, v99, off offset:140 ; 4-byte Folded Spill
	v_lshrrev_b32_e32 v83, 16, v201
	s_delay_alu instid0(VALU_DEP_1) | instskip(NEXT) | instid1(VALU_DEP_1)
	v_mul_f16_e32 v74, v34, v83
	v_fmac_f16_e64 v74, v5, v201
	v_mul_f16_e32 v5, v5, v83
	s_delay_alu instid0(VALU_DEP_1) | instskip(SKIP_1) | instid1(VALU_DEP_2)
	v_fma_f16 v5, v34, v201, -v5
	v_lshrrev_b32_e32 v34, 16, v37
	v_sub_f16_e32 v5, v37, v5
	s_delay_alu instid0(VALU_DEP_2) | instskip(NEXT) | instid1(VALU_DEP_2)
	v_sub_f16_e32 v74, v34, v74
	v_fma_f16 v37, v37, 2.0, -v5
	s_delay_alu instid0(VALU_DEP_2) | instskip(SKIP_1) | instid1(VALU_DEP_2)
	v_fma_f16 v34, v34, 2.0, -v74
	v_pack_b32_f16 v5, v5, v74
	v_pack_b32_f16 v34, v37, v34
	v_and_b32_e32 v37, 0xffff, v84
	ds_store_2addr_b32 v75, v34, v5 offset1:28
	v_lshrrev_b32_e32 v5, 16, v35
	v_mul_u32_u24_e32 v37, 56, v37
	v_lshrrev_b32_e32 v211, 16, v200
	s_delay_alu instid0(VALU_DEP_2) | instskip(NEXT) | instid1(VALU_DEP_2)
	v_add_lshl_u32 v37, v37, v85, 2
	v_mul_f16_e64 v34, v5, v211
	s_delay_alu instid0(VALU_DEP_1) | instskip(SKIP_1) | instid1(VALU_DEP_2)
	v_fma_f16 v34, v35, v200, -v34
	v_mul_f16_e64 v35, v35, v211
	v_sub_f16_e32 v34, v32, v34
	s_delay_alu instid0(VALU_DEP_2) | instskip(SKIP_1) | instid1(VALU_DEP_3)
	v_fmac_f16_e64 v35, v5, v200
	v_lshrrev_b32_e32 v5, 16, v32
	v_fma_f16 v32, v32, 2.0, -v34
	s_delay_alu instid0(VALU_DEP_2) | instskip(NEXT) | instid1(VALU_DEP_1)
	v_sub_f16_e32 v35, v5, v35
	v_fma_f16 v5, v5, 2.0, -v35
	v_pack_b32_f16 v35, v34, v35
	s_delay_alu instid0(VALU_DEP_2) | instskip(SKIP_3) | instid1(VALU_DEP_2)
	v_pack_b32_f16 v5, v32, v5
	ds_store_2addr_b32 v37, v5, v35 offset1:28
	v_and_b32_e32 v5, 0xffff, v86
	v_lshrrev_b32_e32 v35, 16, v199
	v_mul_u32_u24_e32 v5, 56, v5
	s_delay_alu instid0(VALU_DEP_2) | instskip(NEXT) | instid1(VALU_DEP_2)
	v_mul_f16_e32 v32, v30, v35
	v_add_lshl_u32 v34, v5, v87, 2
	v_lshrrev_b32_e32 v5, 16, v30
	s_delay_alu instid0(VALU_DEP_1) | instskip(SKIP_1) | instid1(VALU_DEP_1)
	v_fmac_f16_e64 v32, v5, v199
	v_mul_f16_e32 v5, v5, v35
	v_fma_f16 v5, v30, v199, -v5
	v_lshrrev_b32_e32 v30, 16, v33
	s_delay_alu instid0(VALU_DEP_2) | instskip(NEXT) | instid1(VALU_DEP_2)
	v_sub_f16_e32 v5, v33, v5
	v_sub_f16_e32 v32, v30, v32
	s_delay_alu instid0(VALU_DEP_2) | instskip(NEXT) | instid1(VALU_DEP_2)
	v_fma_f16 v33, v33, 2.0, -v5
	v_fma_f16 v30, v30, 2.0, -v32
	v_pack_b32_f16 v5, v5, v32
	v_mad_u16 v32, v88, 56, v89
	s_delay_alu instid0(VALU_DEP_3) | instskip(SKIP_3) | instid1(VALU_DEP_1)
	v_pack_b32_f16 v30, v33, v30
	ds_store_2addr_b32 v34, v30, v5 offset1:28
	v_lshrrev_b32_e32 v5, 16, v31
	v_lshrrev_b32_e32 v210, 16, v197
	v_mul_f16_e64 v30, v5, v210
	v_lshrrev_b32_e32 v220, 16, v198
	v_lshrrev_b32_e32 v225, 16, v194
	s_delay_alu instid0(VALU_DEP_3) | instskip(SKIP_2) | instid1(VALU_DEP_3)
	v_fma_f16 v30, v31, v197, -v30
	v_mul_f16_e64 v31, v31, v210
	v_lshrrev_b32_e32 v223, 16, v190
	v_sub_f16_e32 v30, v28, v30
	s_delay_alu instid0(VALU_DEP_3) | instskip(SKIP_1) | instid1(VALU_DEP_3)
	v_fmac_f16_e64 v31, v5, v197
	v_lshrrev_b32_e32 v5, 16, v28
	v_fma_f16 v28, v28, 2.0, -v30
	s_delay_alu instid0(VALU_DEP_2) | instskip(NEXT) | instid1(VALU_DEP_1)
	v_sub_f16_e32 v31, v5, v31
	v_fma_f16 v5, v5, 2.0, -v31
	v_pack_b32_f16 v31, v30, v31
	v_mul_f16_e64 v30, v26, v220
	s_delay_alu instid0(VALU_DEP_3) | instskip(SKIP_1) | instid1(VALU_DEP_1)
	v_pack_b32_f16 v5, v28, v5
	v_and_b32_e32 v28, 0xffff, v32
	v_lshlrev_b32_e32 v28, 2, v28
	ds_store_2addr_b32 v28, v5, v31 offset1:28
	v_mad_u16 v5, v76, 56, v77
	s_delay_alu instid0(VALU_DEP_1) | instskip(NEXT) | instid1(VALU_DEP_1)
	v_and_b32_e32 v5, 0xffff, v5
	v_lshlrev_b32_e32 v5, 2, v5
	scratch_store_b32 off, v28, off offset:164 ; 4-byte Folded Spill
	v_lshrrev_b32_e32 v28, 16, v26
	scratch_store_b32 off, v5, off offset:176 ; 4-byte Folded Spill
	v_fmac_f16_e64 v30, v28, v198
	v_mul_f16_e64 v28, v28, v220
	s_delay_alu instid0(VALU_DEP_1)
	v_fma_f16 v26, v26, v198, -v28
	v_lshrrev_b32_e32 v28, 16, v29
	v_lshrrev_b32_e32 v222, 16, v196
	;; [unrolled: 1-line block ×4, first 2 shown]
	v_sub_f16_e32 v26, v29, v26
	v_sub_f16_e32 v30, v28, v30
	v_lshrrev_b32_e32 v229, 16, v192
	v_lshrrev_b32_e32 v232, 16, v191
	;; [unrolled: 1-line block ×3, first 2 shown]
	v_fma_f16 v29, v29, 2.0, -v26
	v_fma_f16 v28, v28, 2.0, -v30
	v_pack_b32_f16 v26, v26, v30
	v_lshrrev_b32_e32 v237, 16, v188
	v_lshrrev_b32_e32 v238, 16, v187
	;; [unrolled: 1-line block ×3, first 2 shown]
	v_pack_b32_f16 v28, v29, v28
	ds_store_2addr_b32 v5, v28, v26 offset1:28
	v_lshrrev_b32_e32 v5, 16, v27
	v_mad_u16 v28, v79, 56, v80
	s_delay_alu instid0(VALU_DEP_2) | instskip(NEXT) | instid1(VALU_DEP_1)
	v_mul_f16_e64 v26, v5, v225
	v_fma_f16 v26, v27, v194, -v26
	v_mul_f16_e64 v27, v27, v225
	s_delay_alu instid0(VALU_DEP_2) | instskip(NEXT) | instid1(VALU_DEP_2)
	v_sub_f16_e32 v26, v24, v26
	v_fmac_f16_e64 v27, v5, v194
	v_lshrrev_b32_e32 v5, 16, v24
	s_delay_alu instid0(VALU_DEP_3) | instskip(NEXT) | instid1(VALU_DEP_2)
	v_fma_f16 v24, v24, 2.0, -v26
	v_sub_f16_e32 v27, v5, v27
	s_delay_alu instid0(VALU_DEP_1) | instskip(SKIP_2) | instid1(VALU_DEP_3)
	v_fma_f16 v5, v5, 2.0, -v27
	v_pack_b32_f16 v27, v26, v27
	v_mul_f16_e64 v26, v22, v223
	v_pack_b32_f16 v5, v24, v5
	v_and_b32_e32 v24, 0xffff, v28
	s_delay_alu instid0(VALU_DEP_1) | instskip(SKIP_2) | instid1(VALU_DEP_1)
	v_lshlrev_b32_e32 v24, 2, v24
	ds_store_2addr_b32 v24, v5, v27 offset1:28
	v_mad_u16 v5, v81, 56, v82
	v_and_b32_e32 v5, 0xffff, v5
	s_delay_alu instid0(VALU_DEP_1)
	v_lshlrev_b32_e32 v5, 2, v5
	scratch_store_b32 off, v24, off offset:184 ; 4-byte Folded Spill
	v_lshrrev_b32_e32 v24, 16, v22
	scratch_store_b32 off, v5, off offset:188 ; 4-byte Folded Spill
	v_fmac_f16_e64 v26, v24, v190
	v_mul_f16_e64 v24, v24, v223
	s_delay_alu instid0(VALU_DEP_1) | instskip(SKIP_1) | instid1(VALU_DEP_2)
	v_fma_f16 v22, v22, v190, -v24
	v_lshrrev_b32_e32 v24, 16, v25
	v_sub_f16_e32 v22, v25, v22
	s_delay_alu instid0(VALU_DEP_2) | instskip(NEXT) | instid1(VALU_DEP_2)
	v_sub_f16_e32 v26, v24, v26
	v_fma_f16 v25, v25, 2.0, -v22
	s_delay_alu instid0(VALU_DEP_2) | instskip(SKIP_1) | instid1(VALU_DEP_2)
	v_fma_f16 v24, v24, 2.0, -v26
	v_pack_b32_f16 v22, v22, v26
	v_pack_b32_f16 v24, v25, v24
	ds_store_2addr_b32 v5, v24, v22 offset1:28
	v_lshrrev_b32_e32 v5, 16, v23
	v_mad_u16 v24, v36, 56, v90
	s_delay_alu instid0(VALU_DEP_2) | instskip(NEXT) | instid1(VALU_DEP_1)
	v_mul_f16_e64 v22, v5, v222
	v_fma_f16 v22, v23, v196, -v22
	v_mul_f16_e64 v23, v23, v222
	s_delay_alu instid0(VALU_DEP_2) | instskip(NEXT) | instid1(VALU_DEP_2)
	v_sub_f16_e32 v22, v20, v22
	v_fmac_f16_e64 v23, v5, v196
	v_lshrrev_b32_e32 v5, 16, v20
	s_delay_alu instid0(VALU_DEP_3) | instskip(NEXT) | instid1(VALU_DEP_2)
	v_fma_f16 v20, v20, 2.0, -v22
	v_sub_f16_e32 v23, v5, v23
	s_delay_alu instid0(VALU_DEP_1) | instskip(SKIP_2) | instid1(VALU_DEP_3)
	v_fma_f16 v5, v5, 2.0, -v23
	v_pack_b32_f16 v23, v22, v23
	v_mul_f16_e64 v22, v18, v224
	v_pack_b32_f16 v5, v20, v5
	v_and_b32_e32 v20, 0xffff, v24
	s_delay_alu instid0(VALU_DEP_1) | instskip(SKIP_3) | instid1(VALU_DEP_1)
	v_lshlrev_b32_e32 v20, 2, v20
	scratch_store_b32 off, v75, off offset:144 ; 4-byte Folded Spill
	ds_store_2addr_b32 v20, v5, v23 offset1:28
	v_mad_u16 v5, v72, 56, v73
	v_and_b32_e32 v5, 0xffff, v5
	s_delay_alu instid0(VALU_DEP_1)
	v_lshlrev_b32_e32 v5, 2, v5
	scratch_store_b32 off, v20, off offset:148 ; 4-byte Folded Spill
	v_lshrrev_b32_e32 v20, 16, v18
	s_clause 0x2
	scratch_store_b32 off, v37, off offset:160
	scratch_store_b32 off, v34, off offset:156
	;; [unrolled: 1-line block ×3, first 2 shown]
	v_fmac_f16_e64 v22, v20, v195
	v_mul_f16_e64 v20, v20, v224
	s_delay_alu instid0(VALU_DEP_1) | instskip(SKIP_1) | instid1(VALU_DEP_2)
	v_fma_f16 v18, v18, v195, -v20
	v_lshrrev_b32_e32 v20, 16, v21
	v_sub_f16_e32 v18, v21, v18
	s_delay_alu instid0(VALU_DEP_2) | instskip(NEXT) | instid1(VALU_DEP_2)
	v_sub_f16_e32 v22, v20, v22
	v_fma_f16 v21, v21, 2.0, -v18
	s_delay_alu instid0(VALU_DEP_2) | instskip(SKIP_1) | instid1(VALU_DEP_2)
	v_fma_f16 v20, v20, 2.0, -v22
	v_pack_b32_f16 v18, v18, v22
	v_pack_b32_f16 v20, v21, v20
	ds_store_2addr_b32 v5, v20, v18 offset1:28
	v_lshrrev_b32_e32 v5, 16, v19
	v_mad_u16 v20, v70, 56, v71
	s_delay_alu instid0(VALU_DEP_2) | instskip(NEXT) | instid1(VALU_DEP_1)
	v_mul_f16_e64 v18, v5, v227
	v_fma_f16 v18, v19, v193, -v18
	v_mul_f16_e64 v19, v19, v227
	s_delay_alu instid0(VALU_DEP_2) | instskip(NEXT) | instid1(VALU_DEP_2)
	v_sub_f16_e32 v18, v16, v18
	v_fmac_f16_e64 v19, v5, v193
	v_lshrrev_b32_e32 v5, 16, v16
	s_delay_alu instid0(VALU_DEP_3) | instskip(NEXT) | instid1(VALU_DEP_2)
	v_fma_f16 v16, v16, 2.0, -v18
	v_sub_f16_e32 v19, v5, v19
	s_delay_alu instid0(VALU_DEP_1) | instskip(SKIP_2) | instid1(VALU_DEP_3)
	v_fma_f16 v5, v5, 2.0, -v19
	v_pack_b32_f16 v19, v18, v19
	v_mul_f16_e64 v18, v14, v229
	v_pack_b32_f16 v5, v16, v5
	v_and_b32_e32 v16, 0xffff, v20
	s_delay_alu instid0(VALU_DEP_1) | instskip(SKIP_2) | instid1(VALU_DEP_1)
	v_lshlrev_b32_e32 v16, 2, v16
	ds_store_2addr_b32 v16, v5, v19 offset1:28
	v_mad_u16 v5, v68, 56, v69
	v_and_b32_e32 v5, 0xffff, v5
	s_delay_alu instid0(VALU_DEP_1)
	v_lshlrev_b32_e32 v5, 2, v5
	scratch_store_b32 off, v16, off offset:168 ; 4-byte Folded Spill
	v_lshrrev_b32_e32 v16, 16, v14
	scratch_store_b32 off, v5, off offset:172 ; 4-byte Folded Spill
	v_fmac_f16_e64 v18, v16, v192
	v_mul_f16_e64 v16, v16, v229
	s_delay_alu instid0(VALU_DEP_1) | instskip(SKIP_1) | instid1(VALU_DEP_2)
	v_fma_f16 v14, v14, v192, -v16
	v_lshrrev_b32_e32 v16, 16, v17
	v_sub_f16_e32 v14, v17, v14
	s_delay_alu instid0(VALU_DEP_2) | instskip(NEXT) | instid1(VALU_DEP_2)
	v_sub_f16_e32 v18, v16, v18
	v_fma_f16 v17, v17, 2.0, -v14
	s_delay_alu instid0(VALU_DEP_2) | instskip(SKIP_1) | instid1(VALU_DEP_2)
	v_fma_f16 v16, v16, 2.0, -v18
	v_pack_b32_f16 v14, v14, v18
	v_pack_b32_f16 v16, v17, v16
	ds_store_2addr_b32 v5, v16, v14 offset1:28
	v_lshrrev_b32_e32 v5, 16, v15
	v_mad_u16 v16, v66, 56, v67
	s_delay_alu instid0(VALU_DEP_2) | instskip(NEXT) | instid1(VALU_DEP_1)
	v_mul_f16_e64 v14, v5, v232
	v_fma_f16 v14, v15, v191, -v14
	v_mul_f16_e64 v15, v15, v232
	s_delay_alu instid0(VALU_DEP_2) | instskip(NEXT) | instid1(VALU_DEP_2)
	v_sub_f16_e32 v14, v12, v14
	v_fmac_f16_e64 v15, v5, v191
	v_lshrrev_b32_e32 v5, 16, v12
	s_delay_alu instid0(VALU_DEP_3) | instskip(NEXT) | instid1(VALU_DEP_2)
	v_fma_f16 v12, v12, 2.0, -v14
	v_sub_f16_e32 v15, v5, v15
	s_delay_alu instid0(VALU_DEP_1) | instskip(SKIP_2) | instid1(VALU_DEP_3)
	v_fma_f16 v5, v5, 2.0, -v15
	v_pack_b32_f16 v15, v14, v15
	v_mad_u16 v14, v64, 56, v65
	v_pack_b32_f16 v5, v12, v5
	v_and_b32_e32 v12, 0xffff, v16
	s_delay_alu instid0(VALU_DEP_1) | instskip(SKIP_4) | instid1(VALU_DEP_1)
	v_lshlrev_b32_e32 v12, 2, v12
	scratch_store_b32 off, v12, off offset:180 ; 4-byte Folded Spill
	ds_store_2addr_b32 v12, v5, v15 offset1:28
	v_lshrrev_b32_e32 v5, 16, v10
	v_mul_f16_e64 v12, v10, v233
	v_fmac_f16_e64 v12, v5, v189
	v_mul_f16_e64 v5, v5, v233
	s_delay_alu instid0(VALU_DEP_1) | instskip(SKIP_1) | instid1(VALU_DEP_2)
	v_fma_f16 v5, v10, v189, -v5
	v_lshrrev_b32_e32 v10, 16, v13
	v_sub_f16_e32 v5, v13, v5
	s_delay_alu instid0(VALU_DEP_2) | instskip(NEXT) | instid1(VALU_DEP_2)
	v_sub_f16_e32 v12, v10, v12
	v_fma_f16 v13, v13, 2.0, -v5
	s_delay_alu instid0(VALU_DEP_2) | instskip(SKIP_2) | instid1(VALU_DEP_3)
	v_fma_f16 v10, v10, 2.0, -v12
	v_pack_b32_f16 v5, v5, v12
	v_and_b32_e32 v12, 0xffff, v14
	v_pack_b32_f16 v10, v13, v10
	s_delay_alu instid0(VALU_DEP_2) | instskip(SKIP_2) | instid1(VALU_DEP_1)
	v_lshlrev_b32_e32 v12, 2, v12
	ds_store_2addr_b32 v12, v10, v5 offset1:28
	v_lshrrev_b32_e32 v5, 16, v11
	v_mul_f16_e64 v10, v5, v237
	s_delay_alu instid0(VALU_DEP_1) | instskip(SKIP_1) | instid1(VALU_DEP_2)
	v_fma_f16 v10, v11, v188, -v10
	v_mul_f16_e64 v11, v11, v237
	v_sub_f16_e32 v10, v8, v10
	s_delay_alu instid0(VALU_DEP_2) | instskip(SKIP_1) | instid1(VALU_DEP_1)
	v_fmac_f16_e64 v11, v5, v188
	v_mad_u16 v5, v62, 56, v63
	v_and_b32_e32 v5, 0xffff, v5
	s_delay_alu instid0(VALU_DEP_1)
	v_lshlrev_b32_e32 v5, 2, v5
	scratch_store_b32 off, v12, off offset:192 ; 4-byte Folded Spill
	v_lshrrev_b32_e32 v12, 16, v8
	v_fma_f16 v8, v8, 2.0, -v10
	scratch_store_b32 off, v5, off offset:196 ; 4-byte Folded Spill
	v_sub_f16_e32 v11, v12, v11
	s_delay_alu instid0(VALU_DEP_1) | instskip(SKIP_1) | instid1(VALU_DEP_2)
	v_fma_f16 v12, v12, 2.0, -v11
	v_pack_b32_f16 v10, v10, v11
	v_pack_b32_f16 v8, v8, v12
	ds_store_2addr_b32 v5, v8, v10 offset1:28
	v_lshrrev_b32_e32 v5, 16, v6
	v_mul_f16_e64 v8, v6, v238
	v_mad_u16 v10, v58, 56, v59
	s_delay_alu instid0(VALU_DEP_2) | instskip(SKIP_1) | instid1(VALU_DEP_1)
	v_fmac_f16_e64 v8, v5, v187
	v_mul_f16_e64 v5, v5, v238
	v_fma_f16 v5, v6, v187, -v5
	v_lshrrev_b32_e32 v6, 16, v9
	s_delay_alu instid0(VALU_DEP_2) | instskip(NEXT) | instid1(VALU_DEP_2)
	v_sub_f16_e32 v5, v9, v5
	v_sub_f16_e32 v8, v6, v8
	s_delay_alu instid0(VALU_DEP_2) | instskip(NEXT) | instid1(VALU_DEP_2)
	v_fma_f16 v9, v9, 2.0, -v5
	v_fma_f16 v6, v6, 2.0, -v8
	v_pack_b32_f16 v5, v5, v8
	v_and_b32_e32 v8, 0xffff, v10
	s_delay_alu instid0(VALU_DEP_3) | instskip(NEXT) | instid1(VALU_DEP_2)
	v_pack_b32_f16 v6, v9, v6
	v_lshlrev_b32_e32 v8, 2, v8
	ds_store_2addr_b32 v8, v6, v5 offset1:28
	v_lshrrev_b32_e32 v5, 16, v7
	scratch_store_b32 off, v8, off offset:200 ; 4-byte Folded Spill
	v_mad_u16 v8, v46, 56, v57
	v_mul_f16_e64 v6, v5, v239
	s_delay_alu instid0(VALU_DEP_1) | instskip(SKIP_1) | instid1(VALU_DEP_1)
	v_fma_f16 v6, v7, v185, -v6
	v_mul_f16_e64 v7, v7, v239
	v_fmac_f16_e64 v7, v5, v185
	s_delay_alu instid0(VALU_DEP_3) | instskip(SKIP_1) | instid1(VALU_DEP_2)
	v_sub_f16_e32 v5, v4, v6
	v_lshrrev_b32_e32 v6, 16, v4
	v_fma_f16 v4, v4, 2.0, -v5
	s_delay_alu instid0(VALU_DEP_2) | instskip(NEXT) | instid1(VALU_DEP_1)
	v_sub_f16_e32 v7, v6, v7
	v_fma_f16 v6, v6, 2.0, -v7
	v_pack_b32_f16 v5, v5, v7
	s_delay_alu instid0(VALU_DEP_2) | instskip(SKIP_1) | instid1(VALU_DEP_1)
	v_pack_b32_f16 v4, v4, v6
	v_and_b32_e32 v6, 0xffff, v8
	v_lshlrev_b32_e32 v6, 2, v6
	ds_store_2addr_b32 v6, v4, v5 offset1:28
	v_lshrrev_b32_e32 v5, 16, v178
	scratch_store_b32 off, v6, off offset:204 ; 4-byte Folded Spill
	v_mul_f16_e32 v4, v45, v5
	v_mul_f16_e32 v5, v44, v5
	s_delay_alu instid0(VALU_DEP_2) | instskip(NEXT) | instid1(VALU_DEP_2)
	v_fma_f16 v4, v44, v178, -v4
	v_fmac_f16_e64 v5, v45, v178
	s_delay_alu instid0(VALU_DEP_2) | instskip(NEXT) | instid1(VALU_DEP_2)
	v_sub_f16_e64 v177, v60, v4
	v_sub_f16_e64 v181, v61, v5
	s_and_saveexec_b32 s1, s0
	s_cbranch_execz .LBB0_13
; %bb.12:
	s_delay_alu instid0(VALU_DEP_2) | instskip(NEXT) | instid1(VALU_DEP_2)
	v_fma_f16 v4, v60, 2.0, -v177
	v_fma_f16 v5, v61, 2.0, -v181
	v_perm_b32 v6, v181, v177, 0x5040100
	s_delay_alu instid0(VALU_DEP_2)
	v_pack_b32_f16 v4, v4, v5
	scratch_load_b32 v5, off, off offset:136 ; 4-byte Folded Reload
	s_waitcnt vmcnt(0)
	v_add_nc_u32_e32 v5, 0x1c00, v5
	ds_store_2addr_b32 v5, v4, v6 offset0:112 offset1:140
.LBB0_13:
	s_or_b32 exec_lo, exec_lo, s1
	v_mad_u64_u32 v[8:9], null, v160, 24, s[4:5]
	s_waitcnt lgkmcnt(0)
	s_waitcnt_vscnt null, 0x0
	s_barrier
	buffer_gl0_inv
	v_add_nc_u32_e32 v79, 0x200, v98
	v_lshrrev_b16 v10, 3, v40
	v_lshrrev_b16 v11, 3, v41
	s_clause 0x1
	global_load_b128 v[4:7], v[8:9], off offset:208
	global_load_b64 v[57:58], v[8:9], off offset:224
	v_lshrrev_b16 v14, 3, v42
	v_add_nc_u32_e32 v81, 0x800, v98
	v_add_nc_u32_e32 v80, 0x1800, v98
	;; [unrolled: 1-line block ×3, first 2 shown]
	ds_load_2addr_b32 v[8:9], v79 offset0:96 offset1:152
	ds_load_2addr_b32 v[12:13], v80 offset0:144 offset1:200
	v_and_b32_e32 v16, 31, v10
	v_and_b32_e32 v17, 31, v11
	v_and_b32_e32 v18, 0xffff, v14
	ds_load_2addr_b32 v[14:15], v81 offset0:48 offset1:104
	ds_load_2addr_b32 v[10:11], v183 offset0:64 offset1:120
	v_add_nc_u32_e32 v184, 0xc00, v98
	v_add_nc_u32_e32 v186, 0x1000, v98
	ds_load_2addr_b32 v[29:30], v98 offset1:56
	v_mul_u32_u24_e32 v18, 0x2493, v18
	v_mul_lo_u16 v16, v16, 37
	v_mul_lo_u16 v17, v17, 37
	v_add_nc_u32_e32 v83, 0x1200, v98
	v_add_nc_u32_e32 v203, 0x1c00, v98
	v_lshrrev_b32_e32 v18, 16, v18
	v_lshrrev_b16 v16, 8, v16
	v_lshrrev_b16 v17, 8, v17
	v_add_nc_u32_e32 v205, 0x400, v98
	v_add_nc_u32_e32 v82, 0xe00, v98
	v_mul_lo_u16 v18, v18, 56
	s_waitcnt lgkmcnt(4)
	v_lshrrev_b32_e32 v19, 16, v9
	s_waitcnt lgkmcnt(3)
	v_lshrrev_b32_e32 v20, 16, v12
	v_mul_lo_u16 v16, v16, 56
	v_mul_lo_u16 v17, v17, 56
	v_sub_nc_u16 v31, v42, v18
	s_waitcnt lgkmcnt(2)
	v_lshrrev_b32_e32 v18, 16, v14
	s_waitcnt lgkmcnt(1)
	v_lshrrev_b32_e32 v21, 16, v11
	v_sub_nc_u16 v16, v40, v16
	v_sub_nc_u16 v17, v41, v17
	s_delay_alu instid0(VALU_DEP_2) | instskip(NEXT) | instid1(VALU_DEP_2)
	v_and_b32_e32 v108, 0xff, v16
	v_and_b32_e32 v114, 0xff, v17
	s_delay_alu instid0(VALU_DEP_2) | instskip(NEXT) | instid1(VALU_DEP_2)
	v_lshlrev_b32_e32 v235, 2, v108
	v_lshlrev_b32_e32 v240, 2, v114
	s_waitcnt vmcnt(1)
	v_lshrrev_b32_e32 v242, 16, v4
	s_waitcnt vmcnt(0)
	v_lshrrev_b32_e32 v236, 16, v58
	v_lshrrev_b32_e32 v246, 16, v5
	;; [unrolled: 1-line block ×4, first 2 shown]
	v_mul_f16_e64 v22, v19, v242
	v_mul_f16_e64 v25, v12, v236
	;; [unrolled: 1-line block ×6, first 2 shown]
	v_fmac_f16_e32 v25, v20, v58
	v_mul_f16_e64 v20, v21, v234
	v_fmac_f16_e32 v23, v19, v4
	v_mul_f16_e64 v19, v11, v234
	v_fma_f16 v9, v9, v4, -v22
	v_fma_f16 v12, v12, v58, -v24
	v_fmac_f16_e32 v26, v18, v5
	v_fma_f16 v18, v14, v5, -v27
	v_fma_f16 v11, v11, v57, -v20
	ds_load_2addr_b32 v[27:28], v186 offset0:96 offset1:152
	v_add_f16_e32 v14, v9, v12
	v_sub_f16_e32 v9, v9, v12
	v_fmac_f16_e32 v19, v21, v57
	v_add_f16_e32 v35, v18, v11
	v_sub_f16_e32 v34, v18, v11
	ds_load_2addr_b32 v[11:12], v184 offset0:16 offset1:72
	v_lshrrev_b32_e32 v249, 16, v7
	v_add_f16_e32 v37, v26, v19
	v_sub_f16_e32 v36, v26, v19
	v_add_f16_e32 v33, v23, v25
	v_sub_f16_e32 v32, v23, v25
	s_waitcnt lgkmcnt(2)
	v_lshrrev_b32_e32 v23, 16, v29
	s_waitcnt lgkmcnt(1)
	v_lshrrev_b32_e32 v19, 16, v27
	v_mul_f16_e64 v22, v27, v249
	s_waitcnt lgkmcnt(0)
	v_lshrrev_b32_e32 v18, 16, v12
	v_mul_f16_e64 v21, v12, v244
	s_delay_alu instid0(VALU_DEP_3) | instskip(SKIP_1) | instid1(VALU_DEP_3)
	v_fmac_f16_e32 v22, v19, v7
	v_mul_f16_e64 v19, v19, v249
	v_fmac_f16_e32 v21, v18, v6
	v_mul_f16_e64 v18, v18, v244
	s_delay_alu instid0(VALU_DEP_2) | instskip(NEXT) | instid1(VALU_DEP_2)
	v_add_f16_e32 v20, v21, v22
	v_fma_f16 v12, v12, v6, -v18
	v_fma_f16 v18, v27, v7, -v19
	s_delay_alu instid0(VALU_DEP_3) | instskip(NEXT) | instid1(VALU_DEP_2)
	v_sub_f16_e32 v88, v20, v37
	v_add_f16_e32 v19, v12, v18
	v_sub_f16_e32 v18, v18, v12
	v_sub_f16_e32 v12, v22, v21
	v_add_f16_e32 v21, v35, v14
	v_add_f16_e32 v22, v37, v33
	v_sub_f16_e32 v77, v19, v35
	v_sub_f16_e32 v89, v9, v18
	;; [unrolled: 1-line block ×3, first 2 shown]
	v_add_f16_e32 v21, v19, v21
	v_add_f16_e32 v22, v20, v22
	s_delay_alu instid0(VALU_DEP_2) | instskip(NEXT) | instid1(VALU_DEP_2)
	v_add_f16_e32 v24, v29, v21
	v_add_f16_e32 v23, v23, v22
	s_delay_alu instid0(VALU_DEP_2) | instskip(SKIP_1) | instid1(VALU_DEP_3)
	v_fmamk_f16 v29, v21, 0xbcab, v24
	v_sub_f16_e32 v21, v14, v19
	v_fmamk_f16 v42, v22, 0xbcab, v23
	v_pack_b32_f16 v46, v24, v23
	v_sub_f16_e32 v19, v33, v20
	v_sub_f16_e32 v22, v18, v34
	;; [unrolled: 1-line block ×3, first 2 shown]
	v_mul_f16_e32 v94, 0x3a52, v21
	v_add_f16_e32 v20, v18, v34
	v_add_f16_e32 v18, v12, v36
	v_mul_f16_e32 v92, 0xb846, v22
	v_mul_f16_e32 v95, 0x3a52, v19
	;; [unrolled: 1-line block ×3, first 2 shown]
	v_fmamk_f16 v12, v77, 0x2b26, v94
	v_add_f16_e32 v91, v20, v9
	v_add_f16_e32 v93, v18, v32
	v_fmamk_f16 v97, v89, 0x3574, v92
	v_fmamk_f16 v101, v90, 0x3574, v96
	v_add_f16_e32 v102, v12, v29
	v_fmamk_f16 v12, v88, 0x2b26, v95
	v_mad_u64_u32 v[20:21], null, v114, 24, s[4:5]
	v_fmac_f16_e32 v97, 0x370e, v91
	v_fmac_f16_e32 v101, 0x370e, v93
	s_delay_alu instid0(VALU_DEP_4)
	v_add_f16_e32 v104, v12, v42
	v_sub_f16_e32 v9, v34, v9
	v_sub_f16_e32 v32, v36, v32
	;; [unrolled: 1-line block ×3, first 2 shown]
	v_add_f16_e32 v12, v101, v102
	v_sub_f16_e32 v18, v104, v97
	v_sub_f16_e32 v33, v37, v33
	v_mul_f16_e32 v34, 0x2b26, v77
	v_fma_f16 v35, v9, 0x3b00, -v92
	v_mul_f16_e32 v9, 0x3b00, v9
	v_pack_b32_f16 v107, v12, v18
	v_mul_lo_u16 v12, v31, 24
	v_mad_u64_u32 v[18:19], null, v108, 24, s[4:5]
	v_fma_f16 v36, v32, 0x3b00, -v96
	v_mul_f16_e32 v32, 0x3b00, v32
	s_delay_alu instid0(VALU_DEP_4)
	v_and_b32_e32 v12, 0xffff, v12
	v_mul_f16_e32 v37, 0x2b26, v88
	v_fma_f16 v34, v14, 0x39e0, -v34
	v_fma_f16 v14, v14, 0xb9e0, -v94
	;; [unrolled: 1-line block ×3, first 2 shown]
	v_add_co_u32 v16, s1, s4, v12
	s_delay_alu instid0(VALU_DEP_1)
	v_add_co_ci_u32_e64 v17, null, s5, 0, s1
	ds_load_b32 v12, v98 offset:7616
	ds_load_2addr_b32 v[40:41], v98 offset0:112 offset1:168
	ds_load_2addr_b32 v[44:45], v205 offset0:80 offset1:136
	;; [unrolled: 1-line block ×6, first 2 shown]
	ds_load_2addr_b32 v[73:74], v203 offset1:56
	ds_load_2addr_b32 v[75:76], v205 offset0:192 offset1:248
	ds_load_2addr_b32 v[84:85], v82 offset0:112 offset1:168
	;; [unrolled: 1-line block ×3, first 2 shown]
	s_clause 0x5
	global_load_b64 v[63:64], v[18:19], off offset:224
	global_load_b128 v[24:27], v[18:19], off offset:208
	global_load_b64 v[61:62], v[20:21], off offset:224
	global_load_b128 v[20:23], v[20:21], off offset:208
	;; [unrolled: 2-line block ×3, first 2 shown]
	v_fma_f16 v32, v90, 0xb574, -v32
	v_fma_f16 v37, v33, 0x39e0, -v37
	;; [unrolled: 1-line block ×3, first 2 shown]
	v_fmac_f16_e32 v9, 0x370e, v91
	v_add_f16_e32 v34, v34, v29
	v_fmac_f16_e32 v32, 0x370e, v93
	v_add_f16_e32 v14, v14, v29
	v_add_f16_e32 v29, v33, v42
	v_fmac_f16_e32 v35, 0x370e, v91
	v_fmac_f16_e32 v36, 0x370e, v93
	v_add_f16_e32 v33, v37, v42
	v_add_f16_e32 v37, v32, v14
	v_sub_f16_e32 v42, v29, v9
	s_waitcnt vmcnt(0) lgkmcnt(0)
	s_barrier
	buffer_gl0_inv
	ds_store_2addr_b32 v98, v46, v107 offset1:56
	v_pack_b32_f16 v37, v37, v42
	v_sub_f16_e32 v42, v34, v36
	v_add_f16_e32 v46, v35, v33
	v_add_f16_e32 v34, v36, v34
	v_sub_f16_e32 v33, v33, v35
	v_sub_f16_e32 v14, v14, v32
	v_add_f16_e32 v9, v9, v29
	v_pack_b32_f16 v42, v42, v46
	v_mul_f16_e64 v35, v44, v242
	v_pack_b32_f16 v29, v34, v33
	v_lshrrev_b32_e32 v33, 16, v13
	v_pack_b32_f16 v9, v14, v9
	ds_store_2addr_b32 v98, v37, v42 offset0:112 offset1:168
	v_lshrrev_b32_e32 v36, 16, v67
	v_mul_f16_e64 v37, v67, v234
	v_mul_f16_e64 v34, v33, v236
	ds_store_2addr_b32 v79, v29, v9 offset0:96 offset1:152
	v_lshrrev_b32_e32 v9, 16, v15
	v_lshrrev_b32_e32 v29, 16, v28
	v_fmac_f16_e32 v37, v36, v57
	v_fma_f16 v34, v13, v58, -v34
	v_mul_f16_e64 v13, v13, v236
	v_mul_f16_e64 v14, v9, v246
	;; [unrolled: 1-line block ×4, first 2 shown]
	v_lshrrev_b32_e32 v42, 16, v65
	v_fmac_f16_e32 v13, v33, v58
	v_lshrrev_b32_e32 v33, 16, v44
	v_fma_f16 v14, v15, v5, -v14
	v_mul_f16_e64 v15, v15, v246
	v_fma_f16 v32, v28, v7, -v32
	v_mul_f16_e64 v28, v28, v249
	v_fmac_f16_e32 v35, v33, v4
	v_mul_f16_e64 v33, v33, v242
	v_mul_f16_e64 v46, v65, v244
	v_fmac_f16_e32 v15, v9, v5
	v_fmac_f16_e32 v28, v29, v7
	v_sub_f16_e32 v9, v102, v101
	v_add_f16_e32 v29, v97, v104
	v_fmac_f16_e32 v46, v42, v6
	v_mul_f16_e64 v42, v42, v244
	v_fma_f16 v33, v44, v4, -v33
	v_fma_f16 v36, v67, v57, -v36
	v_pack_b32_f16 v9, v9, v29
	v_add_f16_e32 v29, v35, v13
	v_fma_f16 v42, v65, v6, -v42
	v_add_f16_e32 v44, v33, v34
	v_add_f16_e32 v65, v14, v36
	;; [unrolled: 1-line block ×5, first 2 shown]
	v_lshrrev_b32_e32 v88, 16, v30
	v_add_f16_e32 v77, v65, v44
	v_add_f16_e32 v91, v89, v29
	v_sub_f16_e32 v14, v14, v36
	v_sub_f16_e32 v32, v32, v42
	;; [unrolled: 1-line block ×3, first 2 shown]
	v_add_f16_e32 v77, v67, v77
	v_add_f16_e32 v91, v90, v91
	v_sub_f16_e32 v15, v15, v37
	v_sub_f16_e32 v28, v28, v46
	;; [unrolled: 1-line block ×3, first 2 shown]
	v_add_f16_e32 v30, v30, v77
	v_add_f16_e32 v88, v88, v91
	;; [unrolled: 1-line block ×3, first 2 shown]
	v_sub_f16_e32 v37, v90, v89
	v_sub_f16_e32 v46, v28, v15
	;; [unrolled: 1-line block ×3, first 2 shown]
	v_pack_b32_f16 v92, v30, v88
	v_fmamk_f16 v30, v77, 0xbcab, v30
	v_sub_f16_e32 v29, v29, v90
	v_mul_f16_e32 v46, 0xb846, v46
	v_and_b32_e32 v31, 0xffff, v31
	ds_store_2addr_b32 v205, v9, v92 offset0:80 offset1:136
	v_sub_f16_e32 v9, v33, v34
	v_sub_f16_e32 v34, v44, v67
	;; [unrolled: 1-line block ×4, first 2 shown]
	v_mul_f16_e32 v29, 0x3a52, v29
	v_sub_f16_e32 v32, v9, v32
	v_mul_f16_e32 v34, 0x3a52, v34
	v_sub_f16_e32 v14, v14, v9
	v_add_f16_e32 v9, v42, v9
	v_add_f16_e32 v42, v28, v15
	v_sub_f16_e32 v15, v15, v13
	v_fmamk_f16 v77, v35, 0x2b26, v34
	v_mul_f16_e32 v35, 0x2b26, v35
	v_sub_f16_e32 v28, v13, v28
	v_mul_f16_e32 v44, 0xb846, v44
	v_mul_f16_e32 v65, 0x3b00, v14
	;; [unrolled: 1-line block ×3, first 2 shown]
	v_fma_f16 v34, v33, 0xb9e0, -v34
	v_fma_f16 v33, v33, 0x39e0, -v35
	v_mul_f16_e32 v35, 0x2b26, v37
	v_add_f16_e32 v13, v42, v13
	v_fmamk_f16 v42, v91, 0xbcab, v88
	v_fma_f16 v65, v32, 0xb574, -v65
	v_fmamk_f16 v32, v32, 0x3574, v44
	v_fma_f16 v67, v28, 0xb574, -v67
	;; [unrolled: 2-line block ×3, first 2 shown]
	v_fma_f16 v15, v15, 0x3b00, -v46
	v_fma_f16 v35, v36, 0x39e0, -v35
	v_fmac_f16_e32 v32, 0x370e, v9
	v_fmac_f16_e32 v28, 0x370e, v13
	;; [unrolled: 1-line block ×5, first 2 shown]
	v_add_f16_e32 v13, v33, v30
	v_fmac_f16_e32 v14, 0x370e, v9
	v_add_f16_e32 v9, v35, v42
	v_add_f16_e32 v77, v77, v30
	v_fmamk_f16 v88, v37, 0x2b26, v29
	v_fma_f16 v29, v36, 0xb9e0, -v29
	v_add_f16_e32 v34, v34, v30
	v_sub_f16_e32 v30, v13, v15
	v_add_f16_e32 v13, v15, v13
	v_add_f16_e32 v15, v14, v9
	v_sub_f16_e32 v9, v9, v14
	v_add_f16_e32 v88, v88, v42
	v_add_f16_e32 v29, v29, v42
	;; [unrolled: 1-line block ×3, first 2 shown]
	v_pack_b32_f16 v14, v30, v15
	v_pack_b32_f16 v9, v13, v9
	v_add_f16_e32 v15, v32, v88
	v_add_f16_e32 v13, v65, v29
	v_sub_f16_e32 v91, v29, v65
	v_sub_f16_e32 v90, v88, v32
	ds_store_2addr_b32 v81, v14, v9 offset0:48 offset1:104
	v_sub_f16_e32 v9, v34, v67
	v_sub_f16_e32 v14, v77, v28
	v_lshrrev_b32_e32 v30, 16, v68
	v_pack_b32_f16 v89, v89, v90
	v_add_f16_e32 v90, v67, v34
	v_pack_b32_f16 v9, v9, v13
	v_pack_b32_f16 v13, v14, v15
	v_lshrrev_b32_e32 v15, 16, v66
	v_lshrrev_b32_e32 v44, 16, v40
	v_pack_b32_f16 v90, v90, v91
	v_lshlrev_b32_e32 v248, 2, v31
	ds_store_2addr_b32 v81, v9, v13 offset0:160 offset1:216
	v_lshrrev_b32_e32 v9, 16, v45
	ds_store_2addr_b32 v205, v89, v90 offset0:192 offset1:248
	v_add_nc_u32_e32 v31, 0x1800, v248
	v_lshrrev_b32_e32 v253, 16, v64
	v_lshrrev_b32_e32 v102, 16, v24
	;; [unrolled: 1-line block ×6, first 2 shown]
	v_mul_f16_e32 v14, v45, v102
	v_mul_f16_e32 v29, v66, v101
	;; [unrolled: 1-line block ×4, first 2 shown]
	v_mul_f16_e64 v33, v68, v252
	v_fmac_f16_e32 v14, v9, v24
	v_fmac_f16_e32 v29, v15, v26
	v_lshrrev_b32_e32 v9, 16, v73
	v_mul_f16_e64 v15, v73, v253
	v_fma_f16 v13, v45, v24, -v13
	v_mul_f16_e64 v32, v30, v252
	v_fmac_f16_e32 v33, v30, v63
	v_mul_f16_e32 v34, v69, v104
	v_fmac_f16_e32 v15, v9, v64
	v_mul_f16_e64 v9, v9, v253
	v_fma_f16 v32, v68, v63, -v32
	v_mul_f16_e32 v36, v71, v107
	v_fma_f16 v28, v66, v26, -v28
	v_lshrrev_b32_e32 v113, 16, v21
	v_fma_f16 v9, v73, v64, -v9
	v_lshrrev_b32_e32 v108, 16, v23
	v_lshrrev_b32_e32 v111, 16, v20
	;; [unrolled: 1-line block ×4, first 2 shown]
	v_add_f16_e32 v30, v13, v9
	v_sub_f16_e32 v9, v13, v9
	v_add_f16_e32 v13, v14, v15
	v_sub_f16_e32 v14, v14, v15
	v_lshrrev_b32_e32 v15, 16, v69
	v_lshrrev_b32_e32 v182, 16, v22
	;; [unrolled: 1-line block ×5, first 2 shown]
	v_fmac_f16_e32 v34, v15, v25
	v_mul_f16_e32 v15, v15, v104
	v_lshrrev_b32_e32 v119, 16, v19
	v_lshrrev_b32_e32 v114, 16, v59
	;; [unrolled: 1-line block ×3, first 2 shown]
	s_delay_alu instid0(VALU_DEP_4) | instskip(NEXT) | instid1(VALU_DEP_1)
	v_fma_f16 v15, v69, v25, -v15
	v_add_f16_e32 v35, v15, v32
	v_sub_f16_e32 v15, v15, v32
	v_add_f16_e32 v32, v34, v33
	v_sub_f16_e32 v33, v34, v33
	v_lshrrev_b32_e32 v34, 16, v71
	s_delay_alu instid0(VALU_DEP_3) | instskip(NEXT) | instid1(VALU_DEP_2)
	v_add_f16_e32 v42, v32, v13
	v_fmac_f16_e32 v36, v34, v27
	v_mul_f16_e32 v34, v34, v107
	s_delay_alu instid0(VALU_DEP_1) | instskip(NEXT) | instid1(VALU_DEP_1)
	v_fma_f16 v34, v71, v27, -v34
	v_add_f16_e32 v37, v28, v34
	v_sub_f16_e32 v28, v34, v28
	v_add_f16_e32 v34, v29, v36
	v_sub_f16_e32 v29, v36, v29
	v_add_f16_e32 v36, v35, v30
	s_delay_alu instid0(VALU_DEP_4) | instskip(NEXT) | instid1(VALU_DEP_4)
	v_add_f16_e32 v46, v28, v15
	v_add_f16_e32 v42, v34, v42
	v_sub_f16_e32 v65, v28, v15
	s_delay_alu instid0(VALU_DEP_4)
	v_add_f16_e32 v36, v37, v36
	v_sub_f16_e32 v28, v9, v28
	v_add_f16_e32 v66, v29, v33
	v_add_f16_e32 v44, v44, v42
	v_sub_f16_e32 v67, v29, v33
	v_add_f16_e32 v40, v40, v36
	v_add_f16_e32 v46, v46, v9
	v_mul_f16_e32 v65, 0xb846, v65
	v_sub_f16_e32 v9, v15, v9
	v_fmamk_f16 v42, v42, 0xbcab, v44
	v_fmamk_f16 v36, v36, 0xbcab, v40
	v_pack_b32_f16 v40, v40, v44
	v_sub_f16_e32 v44, v30, v37
	v_sub_f16_e32 v37, v37, v35
	;; [unrolled: 1-line block ×5, first 2 shown]
	v_add_f16_e32 v66, v66, v14
	v_mul_f16_e32 v67, 0xb846, v67
	v_sub_f16_e32 v14, v33, v14
	v_fma_f16 v33, v9, 0x3b00, -v65
	v_mul_f16_e32 v9, 0x3b00, v9
	v_mul_f16_e32 v44, 0x3a52, v44
	;; [unrolled: 1-line block ×3, first 2 shown]
	v_fmamk_f16 v68, v28, 0x3574, v65
	v_sub_f16_e32 v30, v35, v30
	v_sub_f16_e32 v13, v32, v13
	v_mul_f16_e32 v15, 0x2b26, v37
	v_mul_f16_e32 v32, 0x2b26, v34
	v_fma_f16 v9, v28, 0xb574, -v9
	v_fma_f16 v28, v14, 0x3b00, -v67
	v_mul_f16_e32 v14, 0x3b00, v14
	v_fma_f16 v15, v30, 0x39e0, -v15
	v_fma_f16 v30, v30, 0xb9e0, -v44
	;; [unrolled: 1-line block ×5, first 2 shown]
	v_fmamk_f16 v69, v29, 0x3574, v67
	v_add_f16_e32 v29, v30, v36
	v_fmac_f16_e32 v9, 0x370e, v46
	v_add_f16_e32 v13, v13, v42
	v_fmac_f16_e32 v14, 0x370e, v66
	v_fmamk_f16 v73, v34, 0x2b26, v45
	v_add_f16_e32 v15, v15, v36
	v_add_f16_e32 v30, v32, v42
	v_fmac_f16_e32 v33, 0x370e, v46
	v_fmac_f16_e32 v28, 0x370e, v66
	v_add_f16_e32 v32, v14, v29
	v_sub_f16_e32 v34, v13, v9
	v_fmamk_f16 v71, v37, 0x2b26, v44
	v_sub_f16_e32 v14, v29, v14
	v_add_f16_e32 v9, v9, v13
	v_fmac_f16_e32 v68, 0x370e, v46
	v_pack_b32_f16 v32, v32, v34
	v_sub_f16_e32 v34, v15, v28
	v_add_f16_e32 v15, v28, v15
	v_sub_f16_e32 v28, v30, v33
	v_fmac_f16_e32 v69, 0x370e, v66
	v_add_f16_e32 v71, v71, v36
	v_add_f16_e32 v73, v73, v42
	v_pack_b32_f16 v9, v14, v9
	v_pack_b32_f16 v13, v15, v28
	v_add_nc_u32_e32 v14, 0xe00, v235
	v_add_f16_e32 v77, v69, v71
	v_sub_f16_e32 v88, v73, v68
	v_add_f16_e32 v35, v33, v30
	v_lshrrev_b32_e32 v15, 16, v72
	ds_store_2addr_b32 v14, v13, v9 offset0:112 offset1:168
	v_lshrrev_b32_e32 v9, 16, v70
	v_mul_f16_e32 v14, v70, v113
	v_mul_f16_e32 v29, v72, v108
	v_pack_b32_f16 v77, v77, v88
	v_add_nc_u32_e32 v88, 0xc00, v235
	v_pack_b32_f16 v34, v34, v35
	v_mul_f16_e32 v13, v9, v113
	v_mul_f16_e32 v28, v15, v108
	v_lshrrev_b32_e32 v30, 16, v74
	v_fmac_f16_e32 v14, v9, v21
	v_fmac_f16_e32 v29, v15, v23
	v_lshrrev_b32_e32 v9, 16, v75
	v_mul_f16_e32 v15, v75, v111
	ds_store_2addr_b32 v88, v32, v34 offset0:128 offset1:184
	v_mul_f16_e64 v32, v30, v254
	v_mul_f16_e64 v33, v74, v254
	;; [unrolled: 1-line block ×3, first 2 shown]
	v_fmac_f16_e32 v15, v9, v20
	v_mul_f16_e32 v9, v9, v111
	v_fma_f16 v32, v74, v62, -v32
	v_fmac_f16_e32 v33, v30, v62
	v_fma_f16 v13, v70, v21, -v13
	v_mul_f16_e64 v36, v84, v182
	v_fma_f16 v9, v75, v20, -v9
	v_fma_f16 v28, v72, v23, -v28
	ds_store_2addr_b32 v88, v40, v77 offset0:16 offset1:72
	v_lshrrev_b32_e32 v40, 16, v41
	v_add_f16_e32 v30, v9, v32
	v_sub_f16_e32 v9, v9, v32
	v_add_f16_e32 v32, v15, v33
	v_sub_f16_e32 v15, v15, v33
	v_lshrrev_b32_e32 v33, 16, v86
	s_delay_alu instid0(VALU_DEP_1) | instskip(SKIP_1) | instid1(VALU_DEP_1)
	v_fmac_f16_e32 v34, v33, v61
	v_mul_f16_e64 v33, v33, v255
	v_fma_f16 v33, v86, v61, -v33
	s_delay_alu instid0(VALU_DEP_1) | instskip(SKIP_4) | instid1(VALU_DEP_3)
	v_add_f16_e32 v35, v13, v33
	v_sub_f16_e32 v13, v13, v33
	v_add_f16_e32 v33, v14, v34
	v_sub_f16_e32 v14, v14, v34
	v_lshrrev_b32_e32 v34, 16, v84
	v_add_f16_e32 v42, v33, v32
	s_delay_alu instid0(VALU_DEP_2) | instskip(SKIP_1) | instid1(VALU_DEP_1)
	v_fmac_f16_e32 v36, v34, v22
	v_mul_f16_e64 v34, v34, v182
	v_fma_f16 v34, v84, v22, -v34
	s_delay_alu instid0(VALU_DEP_1) | instskip(SKIP_4) | instid1(VALU_DEP_4)
	v_add_f16_e32 v37, v34, v28
	v_sub_f16_e32 v28, v28, v34
	v_add_f16_e32 v34, v36, v29
	v_sub_f16_e32 v29, v29, v36
	v_add_f16_e32 v36, v35, v30
	v_add_f16_e32 v45, v28, v13
	s_delay_alu instid0(VALU_DEP_4) | instskip(SKIP_1) | instid1(VALU_DEP_4)
	v_add_f16_e32 v42, v34, v42
	v_sub_f16_e32 v46, v28, v13
	v_add_f16_e32 v36, v37, v36
	v_sub_f16_e32 v28, v9, v28
	v_sub_f16_e32 v66, v29, v14
	v_add_f16_e32 v40, v40, v42
	v_add_f16_e32 v45, v45, v9
	;; [unrolled: 1-line block ×3, first 2 shown]
	v_mul_f16_e32 v46, 0xb846, v46
	v_sub_f16_e32 v9, v13, v9
	v_fmamk_f16 v42, v42, 0xbcab, v40
	v_sub_f16_e32 v44, v32, v34
	v_fmamk_f16 v36, v36, 0xbcab, v41
	v_pack_b32_f16 v40, v41, v40
	v_sub_f16_e32 v41, v30, v37
	v_sub_f16_e32 v37, v37, v35
	;; [unrolled: 1-line block ×3, first 2 shown]
	v_add_f16_e32 v65, v29, v14
	v_mul_f16_e32 v66, 0xb846, v66
	v_mul_f16_e32 v41, 0x3a52, v41
	v_sub_f16_e32 v30, v35, v30
	v_sub_f16_e32 v32, v33, v32
	;; [unrolled: 1-line block ×3, first 2 shown]
	v_mul_f16_e32 v14, 0x2b26, v37
	v_fma_f16 v33, v9, 0x3b00, -v46
	v_mul_f16_e32 v9, 0x3b00, v9
	v_sub_f16_e32 v29, v15, v29
	v_add_f16_e32 v65, v65, v15
	v_mul_f16_e32 v44, 0x3a52, v44
	v_fmamk_f16 v74, v28, 0x3574, v46
	v_fma_f16 v14, v30, 0x39e0, -v14
	v_fma_f16 v15, v30, 0xb9e0, -v41
	v_mul_f16_e32 v30, 0x2b26, v34
	v_fma_f16 v9, v28, 0xb574, -v9
	v_fma_f16 v28, v13, 0x3b00, -v66
	v_mul_f16_e32 v13, 0x3b00, v13
	v_fmamk_f16 v72, v29, 0x3574, v66
	v_fma_f16 v30, v32, 0x39e0, -v30
	v_fma_f16 v32, v32, 0xb9e0, -v44
	v_add_f16_e32 v15, v15, v36
	v_fma_f16 v13, v29, 0xb574, -v13
	v_fmac_f16_e32 v9, 0x370e, v45
	v_add_f16_e32 v29, v30, v42
	v_add_f16_e32 v30, v32, v42
	v_fmamk_f16 v70, v34, 0x2b26, v44
	v_fmac_f16_e32 v13, 0x370e, v65
	v_add_f16_e32 v14, v14, v36
	v_fmac_f16_e32 v33, 0x370e, v45
	v_fmac_f16_e32 v28, 0x370e, v65
	v_sub_f16_e32 v34, v30, v9
	v_add_f16_e32 v32, v13, v15
	v_sub_f16_e32 v13, v15, v13
	v_add_f16_e32 v35, v33, v29
	v_add_f16_e32 v9, v9, v30
	v_lshrrev_b32_e32 v15, 16, v11
	v_pack_b32_f16 v32, v32, v34
	v_sub_f16_e32 v34, v14, v28
	v_add_f16_e32 v14, v28, v14
	v_sub_f16_e32 v28, v29, v33
	v_pack_b32_f16 v9, v13, v9
	v_fmamk_f16 v67, v37, 0x2b26, v41
	v_pack_b32_f16 v34, v34, v35
	v_add_nc_u32_e32 v35, 0x1400, v240
	v_pack_b32_f16 v14, v14, v28
	v_mul_f16_e32 v28, v15, v123
	v_lshrrev_b32_e32 v33, 16, v10
	v_add_f16_e32 v67, v67, v36
	ds_store_2addr_b32 v35, v32, v34 offset0:8 offset1:64
	ds_store_2addr_b32 v35, v14, v9 offset0:120 offset1:176
	v_lshrrev_b32_e32 v9, 16, v76
	v_mul_f16_e32 v14, v76, v127
	v_fma_f16 v28, v11, v17, -v28
	v_mul_f16_e32 v11, v11, v123
	v_lshrrev_b32_e32 v35, 16, v87
	v_mul_f16_e32 v13, v9, v127
	v_fmac_f16_e32 v14, v9, v16
	v_lshrrev_b32_e32 v9, 16, v12
	v_fmac_f16_e32 v11, v15, v17
	v_lshrrev_b32_e32 v29, 16, v85
	v_mul_f16_e32 v34, v33, v119
	v_mul_f16_e32 v36, v35, v114
	;; [unrolled: 1-line block ×4, first 2 shown]
	v_fma_f16 v13, v76, v16, -v13
	v_mul_f16_e32 v30, v29, v121
	v_mul_f16_e32 v32, v85, v121
	v_fma_f16 v15, v12, v60, -v15
	v_mul_f16_e32 v12, v12, v117
	v_fma_f16 v34, v10, v19, -v34
	;; [unrolled: 2-line block ×3, first 2 shown]
	v_fmac_f16_e32 v37, v35, v59
	v_fmac_f16_e32 v12, v9, v60
	v_fma_f16 v30, v85, v18, -v30
	v_fmac_f16_e32 v32, v29, v18
	v_fmac_f16_e32 v10, v33, v19
	v_add_f16_e32 v9, v13, v15
	v_sub_f16_e32 v13, v13, v15
	v_add_f16_e32 v15, v14, v12
	v_sub_f16_e32 v12, v14, v12
	v_add_f16_e32 v14, v28, v36
	v_add_f16_e32 v29, v11, v37
	v_sub_f16_e32 v28, v28, v36
	v_add_f16_e32 v33, v30, v34
	v_sub_f16_e32 v30, v34, v30
	;; [unrolled: 2-line block ×3, first 2 shown]
	v_add_f16_e32 v32, v14, v9
	v_add_f16_e32 v36, v29, v15
	;; [unrolled: 1-line block ×3, first 2 shown]
	v_fmac_f16_e32 v72, 0x370e, v65
	v_fmac_f16_e32 v74, 0x370e, v45
	v_add_f16_e32 v32, v33, v32
	v_lshrrev_b32_e32 v35, 16, v8
	v_add_f16_e32 v36, v34, v36
	v_add_f16_e32 v75, v72, v67
	v_sub_f16_e32 v77, v70, v74
	v_sub_f16_e32 v11, v11, v37
	v_add_f16_e32 v8, v8, v32
	v_add_f16_e32 v35, v35, v36
	v_sub_f16_e32 v37, v15, v34
	v_pack_b32_f16 v75, v75, v77
	v_add_nc_u32_e32 v77, 0x1000, v240
	v_fmamk_f16 v32, v32, 0xbcab, v8
	v_fmamk_f16 v36, v36, 0xbcab, v35
	v_pack_b32_f16 v8, v8, v35
	v_sub_f16_e32 v35, v9, v33
	v_sub_f16_e32 v41, v30, v28
	;; [unrolled: 1-line block ×3, first 2 shown]
	ds_store_2addr_b32 v77, v40, v75 offset0:152 offset1:208
	v_sub_f16_e32 v33, v33, v14
	v_sub_f16_e32 v34, v34, v29
	v_add_f16_e32 v40, v30, v28
	v_sub_f16_e32 v30, v13, v30
	v_add_f16_e32 v42, v10, v11
	v_sub_f16_e32 v10, v12, v10
	v_mul_f16_e32 v35, 0x3a52, v35
	v_mul_f16_e32 v37, 0x3a52, v37
	;; [unrolled: 1-line block ×4, first 2 shown]
	v_add_f16_e32 v40, v40, v13
	v_add_f16_e32 v42, v42, v12
	v_fmamk_f16 v45, v33, 0x2b26, v35
	v_fmamk_f16 v46, v34, 0x2b26, v37
	;; [unrolled: 1-line block ×4, first 2 shown]
	v_sub_f16_e32 v13, v28, v13
	v_add_f16_e32 v45, v45, v32
	v_add_f16_e32 v46, v46, v36
	v_fmac_f16_e32 v65, 0x370e, v42
	v_fmac_f16_e32 v66, 0x370e, v40
	v_sub_f16_e32 v11, v11, v12
	v_mul_f16_e32 v12, 0x2b26, v33
	s_delay_alu instid0(VALU_DEP_4) | instskip(NEXT) | instid1(VALU_DEP_4)
	v_add_f16_e32 v75, v65, v45
	v_sub_f16_e32 v76, v46, v66
	s_delay_alu instid0(VALU_DEP_4) | instskip(SKIP_1) | instid1(VALU_DEP_3)
	v_fma_f16 v28, v11, 0x3b00, -v44
	v_mul_f16_e32 v11, 0x3b00, v11
	v_pack_b32_f16 v75, v75, v76
	s_delay_alu instid0(VALU_DEP_3) | instskip(NEXT) | instid1(VALU_DEP_3)
	v_fmac_f16_e32 v28, 0x370e, v42
	v_fma_f16 v10, v10, 0xb574, -v11
	ds_store_2addr_b32 v31, v8, v75 offset0:32 offset1:88
	v_sub_f16_e32 v8, v14, v9
	v_sub_f16_e32 v9, v29, v15
	v_mul_f16_e32 v14, 0x2b26, v34
	v_fma_f16 v15, v13, 0x3b00, -v41
	v_mul_f16_e32 v13, 0x3b00, v13
	v_fma_f16 v12, v8, 0x39e0, -v12
	v_fma_f16 v8, v8, 0xb9e0, -v35
	;; [unrolled: 1-line block ×5, first 2 shown]
	v_fmac_f16_e32 v10, 0x370e, v42
	v_add_f16_e32 v8, v8, v32
	v_add_f16_e32 v11, v12, v32
	;; [unrolled: 1-line block ×3, first 2 shown]
	v_fmac_f16_e32 v13, 0x370e, v40
	v_add_f16_e32 v12, v14, v36
	v_fmac_f16_e32 v15, 0x370e, v40
	v_add_f16_e32 v14, v10, v8
	v_sub_f16_e32 v8, v8, v10
	v_sub_f16_e32 v29, v9, v13
	v_add_f16_e32 v9, v13, v9
	v_add_f16_e32 v30, v15, v12
	v_sub_f16_e32 v12, v12, v15
	v_add_f16_e32 v13, v66, v46
	v_pack_b32_f16 v14, v14, v29
	v_sub_f16_e32 v29, v11, v28
	v_add_f16_e32 v11, v28, v11
	v_pack_b32_f16 v8, v8, v9
	v_add_nc_u32_e32 v9, 0x1c00, v248
	s_delay_alu instid0(VALU_DEP_4) | instskip(NEXT) | instid1(VALU_DEP_4)
	v_pack_b32_f16 v29, v29, v30
	v_pack_b32_f16 v10, v11, v12
	v_add_f16_e32 v11, v74, v70
	v_sub_f16_e32 v12, v45, v65
	ds_store_2addr_b32 v31, v14, v29 offset0:144 offset1:200
	ds_store_2addr_b32 v9, v10, v8 offset1:56
	v_sub_f16_e32 v8, v71, v69
	v_add_f16_e32 v9, v68, v73
	v_sub_f16_e32 v10, v67, v72
	s_delay_alu instid0(VALU_DEP_2) | instskip(NEXT) | instid1(VALU_DEP_2)
	v_pack_b32_f16 v8, v8, v9
	v_pack_b32_f16 v9, v10, v11
	;; [unrolled: 1-line block ×3, first 2 shown]
	ds_store_b32 v235, v8 offset:4480
	ds_store_b32 v240, v9 offset:6048
	;; [unrolled: 1-line block ×3, first 2 shown]
	v_lshlrev_b32_e32 v8, 2, v78
	v_lshlrev_b32_e32 v12, 2, v43
	s_waitcnt lgkmcnt(0)
	s_barrier
	buffer_gl0_inv
	ds_load_2addr_b32 v[28:29], v184 offset0:16 offset1:72
	s_clause 0x1
	global_load_b128 v[8:11], v8, s[4:5] offset:1552
	global_load_b128 v[12:15], v12, s[4:5] offset:1552
	ds_load_2addr_b32 v[65:66], v205 offset0:80 offset1:136
	ds_load_2addr_b32 v[67:68], v186 offset0:96 offset1:152
	;; [unrolled: 1-line block ×4, first 2 shown]
	s_waitcnt lgkmcnt(4)
	v_lshrrev_b32_e32 v30, 16, v28
	s_waitcnt lgkmcnt(0)
	v_lshrrev_b32_e32 v154, 16, v87
	s_waitcnt vmcnt(1)
	v_lshrrev_b32_e32 v241, 16, v9
	s_waitcnt vmcnt(0)
	v_lshrrev_b32_e32 v251, 16, v13
	v_lshrrev_b32_e32 v243, 16, v11
	;; [unrolled: 1-line block ×4, first 2 shown]
	v_mul_f16_e64 v31, v30, v241
	v_mul_f16_e64 v42, v28, v241
	;; [unrolled: 1-line block ×3, first 2 shown]
	v_lshrrev_b32_e32 v247, 16, v10
	v_mul_f16_e64 v45, v66, v245
	v_fma_f16 v35, v28, v9, -v31
	v_lshrrev_b32_e32 v31, 16, v29
	v_fmac_f16_e32 v42, v30, v9
	v_mul_f16_e64 v46, v68, v247
	v_lshrrev_b32_e32 v129, 16, v12
	v_lshrrev_b32_e32 v128, 16, v14
	v_mul_f16_e64 v32, v31, v251
	v_fmac_f16_e32 v36, v31, v13
	s_delay_alu instid0(VALU_DEP_3) | instskip(NEXT) | instid1(VALU_DEP_3)
	v_mul_f16_e64 v94, v86, v128
	v_fma_f16 v37, v29, v13, -v32
	ds_load_2addr_b32 v[28:29], v80 offset0:32 offset1:88
	s_waitcnt lgkmcnt(0)
	v_lshrrev_b32_e32 v32, 16, v28
	v_mul_f16_e64 v44, v28, v243
	v_mul_f16_e64 v40, v29, v250
	s_delay_alu instid0(VALU_DEP_3) | instskip(NEXT) | instid1(VALU_DEP_3)
	v_mul_f16_e64 v33, v32, v243
	v_fmac_f16_e32 v44, v32, v11
	s_delay_alu instid0(VALU_DEP_2) | instskip(SKIP_2) | instid1(VALU_DEP_2)
	v_fma_f16 v43, v28, v11, -v33
	v_lshrrev_b32_e32 v33, 16, v29
	v_lshrrev_b32_e32 v28, 16, v66
	v_mul_f16_e64 v34, v33, v250
	s_delay_alu instid0(VALU_DEP_2) | instskip(SKIP_2) | instid1(VALU_DEP_4)
	v_fmac_f16_e32 v45, v28, v8
	v_mul_f16_e64 v28, v28, v245
	v_fmac_f16_e32 v40, v33, v15
	v_fma_f16 v41, v29, v15, -v34
	v_lshrrev_b32_e32 v29, 16, v68
	s_delay_alu instid0(VALU_DEP_4) | instskip(SKIP_1) | instid1(VALU_DEP_3)
	v_fma_f16 v66, v66, v8, -v28
	v_sub_f16_e32 v71, v45, v44
	v_fmac_f16_e32 v46, v29, v10
	v_mul_f16_e64 v29, v29, v247
	s_delay_alu instid0(VALU_DEP_4) | instskip(SKIP_1) | instid1(VALU_DEP_4)
	v_sub_f16_e32 v28, v66, v35
	v_add_f16_e32 v31, v66, v43
	v_sub_f16_e32 v34, v42, v46
	s_delay_alu instid0(VALU_DEP_4) | instskip(NEXT) | instid1(VALU_DEP_1)
	v_fma_f16 v68, v68, v10, -v29
	v_sub_f16_e32 v29, v43, v68
	v_add_f16_e32 v30, v35, v68
	s_delay_alu instid0(VALU_DEP_2) | instskip(SKIP_2) | instid1(VALU_DEP_1)
	v_add_f16_e32 v69, v28, v29
	v_sub_f16_e32 v28, v35, v66
	v_sub_f16_e32 v29, v68, v43
	v_add_f16_e32 v70, v28, v29
	ds_load_2addr_b32 v[28:29], v98 offset1:56
	s_waitcnt lgkmcnt(0)
	v_fma_f16 v30, -0.5, v30, v28
	v_fma_f16 v31, -0.5, v31, v28
	s_delay_alu instid0(VALU_DEP_2) | instskip(SKIP_1) | instid1(VALU_DEP_3)
	v_fmamk_f16 v32, v71, 0x3b9c, v30
	v_fmac_f16_e32 v30, 0xbb9c, v71
	v_fmamk_f16 v33, v34, 0xbb9c, v31
	v_fmac_f16_e32 v31, 0x3b9c, v34
	s_delay_alu instid0(VALU_DEP_4) | instskip(NEXT) | instid1(VALU_DEP_4)
	v_fmac_f16_e32 v32, 0x38b4, v34
	v_fmac_f16_e32 v30, 0xb8b4, v34
	v_add_f16_e32 v34, v28, v66
	v_sub_f16_e32 v66, v66, v43
	v_fmac_f16_e32 v31, 0xb8b4, v71
	v_fmac_f16_e32 v32, 0x34f2, v69
	;; [unrolled: 1-line block ×3, first 2 shown]
	v_add_f16_e32 v34, v34, v35
	v_fmac_f16_e32 v33, 0x38b4, v71
	v_fmac_f16_e32 v31, 0x34f2, v70
	s_delay_alu instid0(VALU_DEP_3)
	v_add_f16_e32 v34, v34, v68
	v_sub_f16_e32 v68, v35, v68
	v_lshrrev_b32_e32 v35, 16, v28
	v_add_f16_e32 v28, v42, v46
	v_fmac_f16_e32 v33, 0x34f2, v70
	v_add_f16_e32 v34, v34, v43
	v_add_f16_e32 v43, v45, v44
	;; [unrolled: 1-line block ×3, first 2 shown]
	v_fma_f16 v28, -0.5, v28, v35
	s_delay_alu instid0(VALU_DEP_3) | instskip(NEXT) | instid1(VALU_DEP_3)
	v_fmac_f16_e32 v35, -0.5, v43
	v_add_f16_e32 v43, v69, v42
	v_sub_f16_e32 v69, v45, v42
	v_sub_f16_e32 v45, v42, v45
	s_delay_alu instid0(VALU_DEP_3) | instskip(SKIP_2) | instid1(VALU_DEP_3)
	v_add_f16_e32 v42, v43, v46
	v_sub_f16_e32 v43, v44, v46
	v_sub_f16_e32 v46, v46, v44
	v_add_f16_e32 v42, v42, v44
	s_delay_alu instid0(VALU_DEP_3)
	v_add_f16_e32 v69, v69, v43
	v_fmamk_f16 v43, v68, 0x3b9c, v35
	v_fmac_f16_e32 v35, 0xbb9c, v68
	v_fmamk_f16 v44, v66, 0xbb9c, v28
	v_fmac_f16_e32 v28, 0x3b9c, v66
	v_add_f16_e32 v45, v45, v46
	v_pack_b32_f16 v34, v34, v42
	v_fmac_f16_e32 v35, 0x38b4, v66
	v_mul_f16_e64 v42, v84, v129
	v_fmac_f16_e32 v28, 0x38b4, v68
	v_fmac_f16_e32 v43, 0xb8b4, v66
	v_fmac_f16_e32 v44, 0xb8b4, v68
	v_fmac_f16_e32 v35, 0x34f2, v45
	s_delay_alu instid0(VALU_DEP_4) | instskip(NEXT) | instid1(VALU_DEP_4)
	v_fmac_f16_e32 v28, 0x34f2, v69
	v_fmac_f16_e32 v43, 0x34f2, v45
	s_delay_alu instid0(VALU_DEP_4) | instskip(NEXT) | instid1(VALU_DEP_4)
	v_fmac_f16_e32 v44, 0x34f2, v69
	v_pack_b32_f16 v31, v31, v35
	v_lshrrev_b32_e32 v35, 16, v86
	v_pack_b32_f16 v28, v30, v28
	v_lshrrev_b32_e32 v30, 16, v84
	v_pack_b32_f16 v33, v33, v43
	v_pack_b32_f16 v32, v32, v44
	v_fmac_f16_e32 v94, v35, v14
	v_mul_f16_e64 v35, v35, v128
	v_fmac_f16_e32 v42, v30, v12
	v_mul_f16_e64 v30, v30, v129
	ds_store_b32 v98, v32 offset:1568
	v_sub_f16_e64 v137, v36, v94
	v_fma_f16 v86, v86, v14, -v35
	v_lshrrev_b32_e32 v35, 16, v29
	v_fma_f16 v84, v84, v12, -v30
	v_sub_f16_e64 v143, v42, v40
	s_delay_alu instid0(VALU_DEP_4) | instskip(NEXT) | instid1(VALU_DEP_4)
	v_sub_f16_e64 v144, v37, v86
	v_add_f16_e32 v43, v35, v42
	s_delay_alu instid0(VALU_DEP_4) | instskip(SKIP_1) | instid1(VALU_DEP_3)
	v_add_f16_e32 v30, v29, v84
	v_sub_f16_e64 v146, v84, v41
	v_add_f16_e32 v43, v43, v36
	s_delay_alu instid0(VALU_DEP_3) | instskip(NEXT) | instid1(VALU_DEP_2)
	v_add_f16_e32 v30, v30, v37
	v_add_f16_e32 v43, v43, v94
	s_delay_alu instid0(VALU_DEP_2) | instskip(NEXT) | instid1(VALU_DEP_2)
	v_add_f16_e32 v30, v30, v86
	v_add_f16_e32 v43, v43, v40
	s_delay_alu instid0(VALU_DEP_2) | instskip(NEXT) | instid1(VALU_DEP_1)
	v_add_f16_e32 v30, v30, v41
	v_pack_b32_f16 v30, v30, v43
	ds_load_2addr_b32 v[88:89], v98 offset0:112 offset1:168
	ds_load_2addr_b32 v[90:91], v184 offset0:128 offset1:184
	;; [unrolled: 1-line block ×7, first 2 shown]
	ds_load_2addr_b32 v[74:75], v203 offset1:56
	ds_load_2addr_b32 v[70:71], v81 offset0:160 offset1:216
	ds_load_2addr_b32 v[68:69], v183 offset0:176 offset1:232
	ds_store_b32 v98, v33 offset:3136
	ds_store_b32 v98, v31 offset:4704
	;; [unrolled: 1-line block ×3, first 2 shown]
	v_add_f16_e32 v28, v37, v86
	ds_load_b32 v66, v98 offset:7616
	ds_store_2addr_b32 v98, v34, v30 offset1:56
	v_sub_f16_e32 v30, v86, v41
	v_fma_f16 v95, -0.5, v28, v29
	v_add_f16_e32 v28, v84, v41
	v_sub_f16_e32 v41, v41, v86
	s_delay_alu instid0(VALU_DEP_2) | instskip(SKIP_2) | instid1(VALU_DEP_3)
	v_fmac_f16_e32 v29, -0.5, v28
	v_sub_f16_e32 v28, v37, v84
	v_sub_f16_e32 v37, v84, v37
	v_fma_f16 v142, 0xbb9c, v137, v29
	s_delay_alu instid0(VALU_DEP_3)
	v_add_f16_e32 v96, v28, v30
	v_add_f16_e32 v28, v36, v94
	v_sub_f16_e32 v30, v94, v40
	v_fmac_f16_e64 v29, 0x3b9c, v137
	v_add_f16_e32 v37, v37, v41
	s_waitcnt lgkmcnt(12)
	v_lshrrev_b32_e32 v41, 16, v92
	v_fma_f16 v97, -0.5, v28, v35
	v_add_f16_e32 v28, v42, v40
	v_fmac_f16_e64 v29, 0xb8b4, v143
	v_fmac_f16_e64 v142, 0x38b4, v143
	s_delay_alu instid0(VALU_DEP_3) | instskip(SKIP_1) | instid1(VALU_DEP_4)
	v_fmac_f16_e32 v35, -0.5, v28
	v_sub_f16_e32 v28, v36, v42
	v_fmac_f16_e32 v29, 0x34f2, v96
	v_sub_f16_e32 v36, v42, v36
	v_fmac_f16_e64 v142, 0x34f2, v96
	v_fma_f16 v145, 0x3b9c, v144, v35
	v_fmac_f16_e64 v35, 0xbb9c, v144
	v_add_f16_e64 v135, v28, v30
	v_lshlrev_b32_e32 v28, 2, v39
	s_delay_alu instid0(VALU_DEP_4) | instskip(NEXT) | instid1(VALU_DEP_4)
	v_fmac_f16_e64 v145, 0xb8b4, v146
	v_fmac_f16_e64 v35, 0x38b4, v146
	s_delay_alu instid0(VALU_DEP_2) | instskip(NEXT) | instid1(VALU_DEP_2)
	v_fmac_f16_e64 v145, 0x34f2, v135
	v_fmac_f16_e64 v35, 0x34f2, v135
	s_delay_alu instid0(VALU_DEP_1)
	v_pack_b32_f16 v149, v29, v35
	v_lshlrev_b32_e32 v29, 2, v38
	s_clause 0x1
	global_load_b128 v[32:35], v28, s[4:5] offset:1552
	global_load_b128 v[28:31], v29, s[4:5] offset:1552
	v_lshrrev_b32_e32 v38, 16, v85
	s_waitcnt vmcnt(1)
	v_lshrrev_b32_e32 v133, 16, v32
	v_lshrrev_b32_e32 v135, 16, v35
	;; [unrolled: 1-line block ×3, first 2 shown]
	s_delay_alu instid0(VALU_DEP_3) | instskip(NEXT) | instid1(VALU_DEP_3)
	v_mul_f16_e64 v39, v38, v133
	v_mul_f16_e64 v42, v92, v135
	s_delay_alu instid0(VALU_DEP_3) | instskip(NEXT) | instid1(VALU_DEP_3)
	v_mul_f16_e64 v155, v154, v130
	v_fma_f16 v39, v85, v32, -v39
	v_mul_f16_e64 v85, v85, v133
	s_delay_alu instid0(VALU_DEP_4)
	v_fmac_f16_e32 v42, v41, v35
	v_mul_f16_e64 v41, v41, v135
	v_fma_f16 v155, v87, v34, -v155
	v_mul_f16_e64 v87, v87, v130
	v_fmac_f16_e32 v85, v38, v32
	v_sub_f16_e32 v38, v40, v94
	v_fma_f16 v40, 0x3b9c, v143, v95
	v_fmac_f16_e64 v95, 0xbb9c, v143
	v_fma_f16 v41, v92, v35, -v41
	v_fmac_f16_e64 v87, v154, v34
	v_add_f16_e32 v36, v36, v38
	v_fma_f16 v38, 0xbb9c, v146, v97
	v_fmac_f16_e64 v97, 0x3b9c, v146
	v_fmac_f16_e64 v40, 0x38b4, v137
	;; [unrolled: 1-line block ×3, first 2 shown]
	v_lshrrev_b32_e32 v137, 16, v33
	v_fmac_f16_e64 v38, 0xb8b4, v144
	v_fmac_f16_e64 v97, 0x38b4, v144
	v_fmac_f16_e32 v40, 0x34f2, v37
	v_fmac_f16_e32 v95, 0x34f2, v37
	v_mul_f16_e64 v37, v90, v137
	v_fmac_f16_e32 v38, 0x34f2, v36
	v_fmac_f16_e32 v97, 0x34f2, v36
	v_lshrrev_b32_e32 v36, 16, v90
	v_sub_f16_e64 v86, v41, v155
	v_sub_f16_e32 v94, v85, v42
	v_pack_b32_f16 v38, v40, v38
	v_pack_b32_f16 v92, v95, v97
	v_fmac_f16_e32 v37, v36, v33
	v_mul_f16_e64 v36, v36, v137
	v_lshrrev_b32_e32 v97, 16, v88
	v_sub_f16_e64 v154, v39, v41
	s_waitcnt vmcnt(0)
	v_lshrrev_b32_e32 v143, 16, v31
	v_sub_f16_e32 v96, v37, v87
	v_fma_f16 v36, v90, v33, -v36
	v_sub_f16_e32 v90, v42, v87
	v_lshrrev_b32_e32 v144, 16, v28
	v_add_f16_e64 v214, v39, v41
	s_delay_alu instid0(VALU_DEP_4)
	v_sub_f16_e32 v84, v39, v36
	v_add_f16_e64 v40, v36, v155
	v_sub_f16_e64 v157, v36, v155
	s_waitcnt lgkmcnt(11)
	v_mul_f16_e64 v158, v45, v144
	v_fma_f16 v214, -0.5, v214, v88
	v_add_f16_e32 v84, v84, v86
	v_sub_f16_e32 v86, v85, v37
	v_fma_f16 v40, -0.5, v40, v88
	s_delay_alu instid0(VALU_DEP_2) | instskip(SKIP_2) | instid1(VALU_DEP_4)
	v_add_f16_e32 v86, v86, v90
	v_pack_b32_f16 v90, v142, v145
	v_add_f16_e64 v142, v37, v87
	v_fmamk_f16 v95, v94, 0x3b9c, v40
	v_lshrrev_b32_e32 v145, 16, v29
	v_fmac_f16_e32 v40, 0xbb9c, v94
	s_delay_alu instid0(VALU_DEP_4) | instskip(NEXT) | instid1(VALU_DEP_4)
	v_fma_f16 v146, -0.5, v142, v97
	v_fmac_f16_e32 v95, 0x38b4, v96
	s_delay_alu instid0(VALU_DEP_3) | instskip(NEXT) | instid1(VALU_DEP_3)
	v_fmac_f16_e32 v40, 0xb8b4, v96
	v_fma_f16 v142, 0xbb9c, v154, v146
	s_delay_alu instid0(VALU_DEP_3) | instskip(SKIP_1) | instid1(VALU_DEP_4)
	v_fmac_f16_e32 v95, 0x34f2, v84
	v_fmac_f16_e64 v146, 0x3b9c, v154
	v_fmac_f16_e32 v40, 0x34f2, v84
	v_add_f16_e32 v84, v97, v85
	v_fmac_f16_e64 v142, 0xb8b4, v157
	s_delay_alu instid0(VALU_DEP_4) | instskip(NEXT) | instid1(VALU_DEP_2)
	v_fmac_f16_e64 v146, 0x38b4, v157
	v_fmac_f16_e64 v142, 0x34f2, v86
	s_delay_alu instid0(VALU_DEP_2) | instskip(NEXT) | instid1(VALU_DEP_2)
	v_fmac_f16_e64 v146, 0x34f2, v86
	v_pack_b32_f16 v95, v95, v142
	ds_store_b32 v98, v90 offset:3360
	ds_store_b32 v98, v149 offset:4928
	;; [unrolled: 1-line block ×3, first 2 shown]
	ds_store_2addr_b32 v205, v38, v95 offset0:192 offset1:248
	v_lshrrev_b32_e32 v38, 16, v91
	v_lshrrev_b32_e32 v92, 16, v93
	;; [unrolled: 1-line block ×4, first 2 shown]
	v_pack_b32_f16 v40, v40, v146
	v_mul_f16_e64 v90, v38, v145
	v_mul_f16_e64 v95, v92, v143
	s_delay_alu instid0(VALU_DEP_4) | instskip(SKIP_1) | instid1(VALU_DEP_4)
	v_fmac_f16_e64 v158, v149, v28
	v_mul_f16_e64 v149, v149, v144
	v_fma_f16 v90, v91, v29, -v90
	v_mul_f16_e64 v91, v91, v145
	v_fma_f16 v95, v93, v31, -v95
	;; [unrolled: 2-line block ×3, first 2 shown]
	s_delay_alu instid0(VALU_DEP_4)
	v_fmac_f16_e32 v91, v38, v29
	s_waitcnt lgkmcnt(14)
	v_lshrrev_b32_e32 v38, 16, v43
	v_fmac_f16_e32 v93, v92, v31
	v_mul_f16_e64 v92, v43, v142
	v_add_f16_e64 v149, v89, v45
	v_sub_f16_e64 v213, v45, v95
	s_delay_alu instid0(VALU_DEP_4) | instskip(NEXT) | instid1(VALU_DEP_4)
	v_add_f16_e64 v173, v158, v93
	v_fmac_f16_e32 v92, v38, v30
	v_mul_f16_e64 v38, v38, v142
	v_sub_f16_e64 v207, v158, v93
	s_delay_alu instid0(VALU_DEP_3) | instskip(NEXT) | instid1(VALU_DEP_3)
	v_sub_f16_e64 v179, v92, v93
	v_fma_f16 v161, v43, v30, -v38
	v_lshrrev_b32_e32 v43, 16, v89
	s_delay_alu instid0(VALU_DEP_2) | instskip(SKIP_1) | instid1(VALU_DEP_3)
	v_add_f16_e64 v38, v90, v161
	v_sub_f16_e64 v163, v161, v95
	v_add_f16_e64 v175, v43, v158
	v_sub_f16_e64 v208, v90, v161
	s_delay_alu instid0(VALU_DEP_4) | instskip(SKIP_1) | instid1(VALU_DEP_1)
	v_fma_f16 v162, -0.5, v38, v89
	v_add_f16_e32 v38, v45, v95
	v_fmac_f16_e32 v89, -0.5, v38
	v_sub_f16_e32 v38, v90, v45
	v_sub_f16_e32 v45, v45, v90
	s_delay_alu instid0(VALU_DEP_2) | instskip(SKIP_1) | instid1(VALU_DEP_1)
	v_add_f16_e64 v38, v38, v163
	v_add_f16_e64 v163, v91, v92
	v_fma_f16 v163, -0.5, v163, v43
	v_fmac_f16_e64 v43, -0.5, v173
	v_sub_f16_e64 v173, v91, v158
	s_delay_alu instid0(VALU_DEP_2) | instskip(NEXT) | instid1(VALU_DEP_2)
	v_fma_f16 v212, 0x3b9c, v208, v43
	v_add_f16_e64 v173, v173, v179
	v_sub_f16_e64 v179, v91, v92
	v_fmac_f16_e64 v43, 0xbb9c, v208
	s_delay_alu instid0(VALU_DEP_4) | instskip(NEXT) | instid1(VALU_DEP_3)
	v_fmac_f16_e64 v212, 0xb8b4, v213
	v_fma_f16 v206, 0xbb9c, v179, v89
	v_fmac_f16_e64 v89, 0x3b9c, v179
	s_delay_alu instid0(VALU_DEP_4) | instskip(NEXT) | instid1(VALU_DEP_4)
	v_fmac_f16_e64 v43, 0x38b4, v213
	v_fmac_f16_e64 v212, 0x34f2, v173
	s_delay_alu instid0(VALU_DEP_4) | instskip(NEXT) | instid1(VALU_DEP_4)
	v_fmac_f16_e64 v206, 0x38b4, v207
	v_fmac_f16_e64 v89, 0xb8b4, v207
	s_delay_alu instid0(VALU_DEP_4) | instskip(NEXT) | instid1(VALU_DEP_3)
	v_fmac_f16_e64 v43, 0x34f2, v173
	v_fmac_f16_e64 v206, 0x34f2, v38
	s_delay_alu instid0(VALU_DEP_3) | instskip(NEXT) | instid1(VALU_DEP_1)
	v_fmac_f16_e32 v89, 0x34f2, v38
	v_pack_b32_f16 v89, v89, v43
	v_add_f16_e32 v43, v88, v39
	s_delay_alu instid0(VALU_DEP_1) | instskip(SKIP_1) | instid1(VALU_DEP_2)
	v_add_f16_e32 v43, v43, v36
	v_sub_f16_e32 v36, v36, v39
	v_add_f16_e64 v39, v43, v155
	v_sub_f16_e64 v43, v155, v41
	s_delay_alu instid0(VALU_DEP_2) | instskip(NEXT) | instid1(VALU_DEP_2)
	v_add_f16_e32 v39, v39, v41
	v_add_f16_e32 v36, v36, v43
	v_add_f16_e32 v43, v85, v42
	v_fma_f16 v41, 0xbb9c, v96, v214
	v_fmac_f16_e64 v214, 0x3b9c, v96
	s_waitcnt lgkmcnt(13)
	v_lshrrev_b32_e32 v96, 16, v72
	v_fmac_f16_e32 v97, -0.5, v43
	v_add_f16_e32 v43, v84, v37
	v_sub_f16_e32 v37, v37, v85
	v_add_f16_e64 v85, v175, v91
	v_fmac_f16_e64 v214, 0xb8b4, v94
	v_fma_f16 v84, 0x3b9c, v157, v97
	v_add_f16_e32 v43, v43, v87
	v_fmac_f16_e64 v97, 0xbb9c, v157
	v_fmac_f16_e32 v41, 0x38b4, v94
	v_add_f16_e32 v85, v85, v92
	v_fmac_f16_e64 v84, 0xb8b4, v154
	v_add_f16_e32 v43, v43, v42
	v_sub_f16_e32 v42, v87, v42
	v_fmac_f16_e64 v97, 0x38b4, v154
	v_fmac_f16_e64 v214, 0x34f2, v36
	v_fmac_f16_e32 v41, 0x34f2, v36
	v_pack_b32_f16 v39, v39, v43
	v_add_f16_e64 v43, v149, v90
	v_add_f16_e32 v37, v37, v42
	v_add_f16_e32 v85, v85, v93
	v_sub_f16_e32 v90, v93, v92
	s_delay_alu instid0(VALU_DEP_4) | instskip(NEXT) | instid1(VALU_DEP_4)
	v_add_f16_e64 v43, v43, v161
	v_fmac_f16_e32 v97, 0x34f2, v37
	v_fmac_f16_e32 v84, 0x34f2, v37
	v_pack_b32_f16 v37, v206, v212
	s_delay_alu instid0(VALU_DEP_4) | instskip(NEXT) | instid1(VALU_DEP_4)
	v_add_f16_e32 v43, v43, v95
	v_pack_b32_f16 v42, v214, v97
	s_delay_alu instid0(VALU_DEP_4) | instskip(SKIP_1) | instid1(VALU_DEP_4)
	v_pack_b32_f16 v36, v41, v84
	v_lshrrev_b32_e32 v84, 16, v46
	v_pack_b32_f16 v43, v43, v85
	ds_store_b32 v98, v42 offset:5152
	ds_store_b32 v98, v40 offset:6720
	ds_store_2addr_b32 v98, v39, v43 offset0:112 offset1:168
	ds_store_2addr_b32 v184, v36, v37 offset0:128 offset1:184
	s_clause 0x1
	global_load_b128 v[36:39], v49, s[4:5] offset:1552
	global_load_b128 v[40:43], v109, s[4:5] offset:1552
	s_waitcnt vmcnt(1)
	v_lshrrev_b32_e32 v154, 16, v36
	v_lshrrev_b32_e32 v146, 16, v38
	;; [unrolled: 1-line block ×4, first 2 shown]
	s_delay_alu instid0(VALU_DEP_4) | instskip(SKIP_2) | instid1(VALU_DEP_3)
	v_mul_f16_e64 v86, v46, v154
	v_mul_f16_e64 v85, v84, v154
	;; [unrolled: 1-line block ×3, first 2 shown]
	v_fmac_f16_e32 v86, v84, v36
	v_lshrrev_b32_e32 v84, 16, v44
	s_delay_alu instid0(VALU_DEP_4) | instskip(SKIP_1) | instid1(VALU_DEP_3)
	v_fma_f16 v85, v46, v36, -v85
	v_sub_f16_e64 v46, v95, v161
	v_mul_f16_e64 v87, v84, v146
	v_fmac_f16_e32 v88, v84, v38
	s_waitcnt lgkmcnt(16)
	v_mul_f16_e64 v84, v76, v155
	s_delay_alu instid0(VALU_DEP_3)
	v_fma_f16 v87, v44, v38, -v87
	v_add_f16_e32 v44, v45, v46
	v_fma_f16 v45, 0x3b9c, v207, v162
	v_fmac_f16_e64 v162, 0xbb9c, v207
	v_sub_f16_e64 v46, v158, v91
	v_fma_f16 v91, 0xbb9c, v213, v163
	v_fmac_f16_e64 v163, 0x3b9c, v213
	v_fmac_f16_e64 v45, 0x38b4, v179
	;; [unrolled: 1-line block ×3, first 2 shown]
	v_add_f16_e32 v46, v46, v90
	v_fmac_f16_e64 v91, 0xb8b4, v208
	v_fmac_f16_e64 v163, 0x38b4, v208
	v_fmac_f16_e32 v45, 0x34f2, v44
	v_fmac_f16_e64 v162, 0x34f2, v44
	v_lshrrev_b32_e32 v44, 16, v76
	v_fmac_f16_e32 v91, 0x34f2, v46
	v_fmac_f16_e64 v163, 0x34f2, v46
	s_waitcnt lgkmcnt(15)
	v_lshrrev_b32_e32 v46, 16, v74
	v_mul_f16_e64 v90, v74, v149
	v_fmac_f16_e32 v84, v44, v37
	v_mul_f16_e64 v44, v44, v155
	v_pack_b32_f16 v45, v45, v91
	v_lshrrev_b32_e32 v158, 16, v75
	v_fmac_f16_e32 v90, v46, v39
	v_mul_f16_e64 v46, v46, v149
	v_fma_f16 v76, v76, v37, -v44
	v_add_f16_e32 v97, v84, v88
	v_sub_f16_e32 v95, v84, v88
	v_sub_f16_e32 v94, v86, v90
	v_fma_f16 v74, v74, v39, -v46
	v_sub_f16_e32 v44, v85, v76
	v_fma_f16 v97, -0.5, v97, v96
	v_sub_f16_e64 v173, v76, v87
	s_waitcnt lgkmcnt(13)
	v_lshrrev_b32_e32 v179, 16, v68
	v_sub_f16_e32 v46, v74, v87
	v_add_f16_e64 v231, v85, v74
	s_delay_alu instid0(VALU_DEP_2) | instskip(SKIP_2) | instid1(VALU_DEP_1)
	v_add_f16_e32 v92, v44, v46
	v_sub_f16_e32 v44, v86, v84
	v_sub_f16_e32 v46, v90, v88
	v_add_f16_e32 v93, v44, v46
	v_add_f16_e32 v46, v76, v87
	v_pack_b32_f16 v44, v162, v163
	v_sub_f16_e64 v163, v85, v74
	s_delay_alu instid0(VALU_DEP_3) | instskip(NEXT) | instid1(VALU_DEP_2)
	v_fma_f16 v91, -0.5, v46, v72
	v_fma_f16 v157, 0xbb9c, v163, v97
	v_fmac_f16_e64 v97, 0x3b9c, v163
	s_delay_alu instid0(VALU_DEP_3) | instskip(SKIP_1) | instid1(VALU_DEP_4)
	v_fmamk_f16 v46, v94, 0x3b9c, v91
	v_fmac_f16_e32 v91, 0xbb9c, v94
	v_fmac_f16_e64 v157, 0xb8b4, v173
	s_delay_alu instid0(VALU_DEP_4) | instskip(NEXT) | instid1(VALU_DEP_4)
	v_fmac_f16_e64 v97, 0x38b4, v173
	v_fmac_f16_e32 v46, 0x38b4, v95
	s_delay_alu instid0(VALU_DEP_4) | instskip(NEXT) | instid1(VALU_DEP_4)
	v_fmac_f16_e32 v91, 0xb8b4, v95
	v_fmac_f16_e64 v157, 0x34f2, v93
	s_delay_alu instid0(VALU_DEP_4) | instskip(NEXT) | instid1(VALU_DEP_4)
	v_fmac_f16_e32 v97, 0x34f2, v93
	v_fmac_f16_e32 v46, 0x34f2, v92
	s_delay_alu instid0(VALU_DEP_4) | instskip(NEXT) | instid1(VALU_DEP_2)
	v_fmac_f16_e32 v91, 0x34f2, v92
	v_pack_b32_f16 v46, v46, v157
	ds_store_b32 v98, v89 offset:5376
	ds_store_b32 v98, v44 offset:6944
	ds_store_2addr_b32 v81, v45, v46 offset0:48 offset1:104
	v_lshlrev_b32_e32 v44, 2, v47
	v_lshrrev_b32_e32 v89, 16, v77
	global_load_b128 v[44:47], v44, s[4:5] offset:1552
	s_waitcnt vmcnt(0)
	v_lshrrev_b32_e32 v162, 16, v45
	s_delay_alu instid0(VALU_DEP_1) | instskip(NEXT) | instid1(VALU_DEP_1)
	v_mul_f16_e64 v157, v89, v162
	v_fma_f16 v206, v77, v45, -v157
	v_lshrrev_b32_e32 v157, 16, v47
	v_mul_f16_e64 v77, v77, v162
	s_delay_alu instid0(VALU_DEP_2) | instskip(NEXT) | instid1(VALU_DEP_2)
	v_mul_f16_e64 v161, v158, v157
	v_fmac_f16_e32 v77, v89, v45
	v_add_f16_e32 v89, v72, v85
	v_fma_f16 v72, -0.5, v231, v72
	s_delay_alu instid0(VALU_DEP_4) | instskip(SKIP_1) | instid1(VALU_DEP_4)
	v_fma_f16 v207, v75, v47, -v161
	v_mul_f16_e64 v75, v75, v157
	v_add_f16_e32 v89, v89, v76
	v_lshrrev_b32_e32 v161, 16, v44
	v_sub_f16_e32 v76, v76, v85
	v_fmamk_f16 v85, v95, 0xbb9c, v72
	v_fmac_f16_e64 v75, v158, v47
	v_add_f16_e64 v158, v96, v86
	v_add_f16_e32 v89, v89, v87
	v_mul_f16_e64 v208, v70, v161
	v_fmac_f16_e32 v72, 0x3b9c, v95
	v_fmac_f16_e32 v85, 0x38b4, v94
	v_add_f16_e64 v158, v158, v84
	v_add_f16_e32 v89, v89, v74
	v_sub_f16_e32 v74, v87, v74
	v_fmac_f16_e32 v72, 0xb8b4, v94
	s_delay_alu instid0(VALU_DEP_4) | instskip(NEXT) | instid1(VALU_DEP_3)
	v_add_f16_e64 v158, v158, v88
	v_add_f16_e32 v74, v76, v74
	v_add_f16_e32 v76, v86, v90
	s_delay_alu instid0(VALU_DEP_3) | instskip(NEXT) | instid1(VALU_DEP_3)
	v_add_f16_e64 v158, v158, v90
	v_fmac_f16_e32 v72, 0x34f2, v74
	s_delay_alu instid0(VALU_DEP_3) | instskip(SKIP_1) | instid1(VALU_DEP_4)
	v_fmac_f16_e32 v96, -0.5, v76
	v_sub_f16_e32 v76, v84, v86
	v_pack_b32_f16 v89, v89, v158
	v_lshrrev_b32_e32 v158, 16, v70
	v_sub_f16_e32 v84, v88, v90
	v_fma_f16 v86, 0x3b9c, v173, v96
	v_fmac_f16_e64 v96, 0xbb9c, v173
	v_fmac_f16_e32 v85, 0x34f2, v74
	v_fmac_f16_e64 v208, v158, v44
	v_mul_f16_e64 v175, v158, v161
	v_lshrrev_b32_e32 v158, 16, v46
	v_add_f16_e32 v76, v76, v84
	v_fmac_f16_e64 v96, 0x38b4, v163
	v_add_f16_e64 v214, v208, v75
	v_fma_f16 v70, v70, v44, -v175
	v_mul_f16_e64 v212, v68, v158
	v_sub_f16_e64 v217, v208, v75
	v_fmac_f16_e64 v86, 0xb8b4, v163
	v_fmac_f16_e32 v96, 0x34f2, v76
	v_add_f16_e64 v175, v73, v70
	v_fmac_f16_e64 v212, v179, v46
	v_mul_f16_e64 v179, v179, v158
	v_sub_f16_e64 v230, v70, v207
	v_fmac_f16_e32 v86, 0x34f2, v76
	v_add_f16_e64 v175, v175, v206
	v_sub_f16_e64 v215, v212, v75
	v_fma_f16 v68, v68, v46, -v179
	v_lshrrev_b32_e32 v179, 16, v73
	v_pack_b32_f16 v72, v72, v96
	v_pack_b32_f16 v74, v91, v97
	;; [unrolled: 1-line block ×3, first 2 shown]
	v_add_f16_e64 v175, v175, v68
	v_add_f16_e64 v213, v179, v208
	v_sub_f16_e64 v218, v206, v68
	v_lshrrev_b32_e32 v163, 16, v41
	v_lshrrev_b32_e32 v85, 16, v69
	v_add_f16_e64 v175, v175, v207
	v_add_f16_e64 v213, v213, v77
	v_lshrrev_b32_e32 v173, 16, v43
	s_delay_alu instid0(VALU_DEP_2) | instskip(NEXT) | instid1(VALU_DEP_1)
	v_add_f16_e64 v213, v213, v212
	v_add_f16_e64 v213, v213, v75
	v_sub_f16_e64 v75, v75, v212
	s_delay_alu instid0(VALU_DEP_2)
	v_pack_b32_f16 v175, v175, v213
	v_sub_f16_e64 v213, v68, v207
	ds_store_2addr_b32 v79, v89, v175 offset0:96 offset1:152
	v_add_f16_e64 v89, v206, v68
	v_add_f16_e64 v175, v70, v207
	v_sub_f16_e64 v68, v207, v68
	s_delay_alu instid0(VALU_DEP_3) | instskip(NEXT) | instid1(VALU_DEP_3)
	v_fma_f16 v89, -0.5, v89, v73
	v_fmac_f16_e64 v73, -0.5, v175
	v_sub_f16_e64 v175, v206, v70
	v_sub_f16_e64 v70, v70, v206
	v_lshrrev_b32_e32 v206, 16, v65
	s_delay_alu instid0(VALU_DEP_3) | instskip(SKIP_1) | instid1(VALU_DEP_4)
	v_add_f16_e64 v175, v175, v213
	v_add_f16_e64 v213, v77, v212
	v_add_f16_e32 v68, v70, v68
	v_fma_f16 v70, 0x3b9c, v217, v89
	v_fmac_f16_e64 v89, 0xbb9c, v217
	s_delay_alu instid0(VALU_DEP_4) | instskip(SKIP_2) | instid1(VALU_DEP_2)
	v_fma_f16 v213, -0.5, v213, v179
	v_fmac_f16_e64 v179, -0.5, v214
	v_sub_f16_e64 v214, v77, v208
	v_fma_f16 v219, 0x3b9c, v218, v179
	s_delay_alu instid0(VALU_DEP_2) | instskip(SKIP_2) | instid1(VALU_DEP_4)
	v_add_f16_e64 v214, v214, v215
	v_sub_f16_e64 v215, v77, v212
	v_fmac_f16_e64 v179, 0xbb9c, v218
	v_fmac_f16_e64 v219, 0xb8b4, v230
	s_delay_alu instid0(VALU_DEP_3) | instskip(SKIP_1) | instid1(VALU_DEP_4)
	v_fma_f16 v216, 0xbb9c, v215, v73
	v_fmac_f16_e64 v73, 0x3b9c, v215
	v_fmac_f16_e64 v179, 0x38b4, v230
	s_delay_alu instid0(VALU_DEP_4)
	v_fmac_f16_e64 v219, 0x34f2, v214
	v_fmac_f16_e64 v70, 0x38b4, v215
	;; [unrolled: 1-line block ×6, first 2 shown]
	v_fmac_f16_e32 v70, 0x34f2, v68
	v_fmac_f16_e64 v216, 0x34f2, v175
	v_fmac_f16_e64 v73, 0x34f2, v175
	v_lshrrev_b32_e32 v175, 16, v42
	v_fmac_f16_e32 v89, 0x34f2, v68
	s_delay_alu instid0(VALU_DEP_4) | instskip(NEXT) | instid1(VALU_DEP_4)
	v_pack_b32_f16 v84, v216, v219
	v_pack_b32_f16 v73, v73, v179
	ds_store_b32 v98, v72 offset:5600
	ds_store_b32 v98, v74 offset:7168
	ds_store_2addr_b32 v82, v76, v84 offset0:112 offset1:168
	v_lshrrev_b32_e32 v72, 16, v71
	v_lshrrev_b32_e32 v179, 16, v40
	;; [unrolled: 1-line block ×3, first 2 shown]
	v_mul_f16_e64 v86, v85, v175
	s_delay_alu instid0(VALU_DEP_3) | instskip(NEXT) | instid1(VALU_DEP_3)
	v_mul_f16_e64 v74, v72, v179
	v_mul_f16_e64 v84, v76, v163
	s_delay_alu instid0(VALU_DEP_3) | instskip(SKIP_1) | instid1(VALU_DEP_4)
	v_fma_f16 v86, v69, v42, -v86
	v_mul_f16_e64 v69, v69, v175
	v_fma_f16 v74, v71, v40, -v74
	v_mul_f16_e64 v71, v71, v179
	;; [unrolled: 2-line block ×3, first 2 shown]
	v_fmac_f16_e32 v69, v85, v42
	s_delay_alu instid0(VALU_DEP_4) | instskip(SKIP_1) | instid1(VALU_DEP_4)
	v_fmac_f16_e32 v71, v72, v40
	v_sub_f16_e64 v72, v208, v77
	v_fmac_f16_e32 v67, v76, v41
	v_fma_f16 v76, 0xbb9c, v230, v213
	v_fmac_f16_e64 v213, 0x3b9c, v230
	v_add_f16_e64 v85, v206, v71
	v_add_f16_e32 v72, v72, v75
	s_waitcnt lgkmcnt(16)
	v_lshrrev_b32_e32 v75, 16, v66
	v_fmac_f16_e64 v76, 0xb8b4, v218
	v_fmac_f16_e64 v213, 0x38b4, v218
	v_add_f16_e32 v85, v85, v67
	v_sub_f16_e32 v68, v74, v84
	v_mul_f16_e64 v77, v75, v173
	v_fmac_f16_e32 v76, 0x34f2, v72
	v_fmac_f16_e64 v213, 0x34f2, v72
	v_add_f16_e32 v85, v85, v69
	v_sub_f16_e32 v88, v67, v69
	v_fma_f16 v77, v66, v43, -v77
	v_pack_b32_f16 v70, v70, v76
	v_add_f16_e32 v76, v65, v74
	v_mul_f16_e64 v66, v66, v173
	v_sub_f16_e32 v91, v84, v86
	v_sub_f16_e32 v72, v77, v86
	s_delay_alu instid0(VALU_DEP_4) | instskip(NEXT) | instid1(VALU_DEP_4)
	v_add_f16_e32 v76, v76, v84
	v_fmac_f16_e32 v66, v75, v43
	s_delay_alu instid0(VALU_DEP_3) | instskip(SKIP_1) | instid1(VALU_DEP_4)
	v_add_f16_e32 v68, v68, v72
	v_sub_f16_e32 v72, v71, v67
	v_add_f16_e32 v76, v76, v86
	s_delay_alu instid0(VALU_DEP_4) | instskip(SKIP_1) | instid1(VALU_DEP_3)
	v_sub_f16_e32 v75, v66, v69
	v_add_f16_e32 v85, v85, v66
	v_add_f16_e32 v76, v76, v77
	s_delay_alu instid0(VALU_DEP_3)
	v_add_f16_e32 v72, v72, v75
	v_pack_b32_f16 v75, v89, v213
	v_add_f16_e32 v89, v67, v69
	v_sub_f16_e32 v67, v67, v71
	v_pack_b32_f16 v76, v76, v85
	v_add_f16_e32 v85, v84, v86
	s_delay_alu instid0(VALU_DEP_4) | instskip(SKIP_1) | instid1(VALU_DEP_3)
	v_fma_f16 v212, -0.5, v89, v206
	v_sub_f16_e32 v89, v74, v77
	v_fma_f16 v208, -0.5, v85, v65
	v_sub_f16_e32 v85, v71, v66
	s_delay_alu instid0(VALU_DEP_3) | instskip(SKIP_1) | instid1(VALU_DEP_3)
	v_fma_f16 v90, 0xbb9c, v89, v212
	v_fmac_f16_e64 v212, 0x3b9c, v89
	v_fma_f16 v87, 0x3b9c, v85, v208
	v_fmac_f16_e64 v208, 0xbb9c, v85
	s_delay_alu instid0(VALU_DEP_4) | instskip(NEXT) | instid1(VALU_DEP_4)
	v_fmac_f16_e32 v90, 0xb8b4, v91
	v_fmac_f16_e64 v212, 0x38b4, v91
	s_delay_alu instid0(VALU_DEP_4) | instskip(NEXT) | instid1(VALU_DEP_4)
	v_fmac_f16_e32 v87, 0x38b4, v88
	;; [unrolled: 3-line block ×4, first 2 shown]
	v_fmac_f16_e64 v208, 0x34f2, v68
	v_add_f16_e32 v68, v71, v66
	v_sub_f16_e32 v66, v69, v66
	s_delay_alu instid0(VALU_DEP_4)
	v_pack_b32_f16 v87, v87, v90
	ds_store_b32 v98, v75 offset:7392
	ds_store_b32 v98, v73 offset:5824
	;; [unrolled: 1-line block ×3, first 2 shown]
	ds_store_2addr_b32 v81, v70, v87 offset0:160 offset1:216
	v_add_f16_e32 v70, v74, v77
	v_fmac_f16_e64 v206, -0.5, v68
	v_sub_f16_e32 v73, v86, v77
	v_add_f16_e32 v66, v67, v66
	v_add_co_u32 v68, s1, s12, v78
	v_fmac_f16_e32 v65, -0.5, v70
	v_sub_f16_e32 v70, v84, v74
	v_fma_f16 v213, 0x3b9c, v91, v206
	v_fmac_f16_e64 v206, 0xbb9c, v91
	v_add_co_ci_u32_e64 v69, null, s13, 0, s1
	v_fma_f16 v207, 0xbb9c, v88, v65
	v_fmac_f16_e32 v65, 0x3b9c, v88
	v_add_f16_e32 v70, v70, v73
	v_fmac_f16_e64 v213, 0xb8b4, v89
	v_fmac_f16_e64 v206, 0x38b4, v89
	;; [unrolled: 1-line block ×3, first 2 shown]
	v_fmac_f16_e32 v65, 0xb8b4, v85
	s_delay_alu instid0(VALU_DEP_4) | instskip(NEXT) | instid1(VALU_DEP_4)
	v_fmac_f16_e64 v213, 0x34f2, v66
	v_fmac_f16_e64 v206, 0x34f2, v66
	s_delay_alu instid0(VALU_DEP_4) | instskip(NEXT) | instid1(VALU_DEP_4)
	v_fmac_f16_e64 v207, 0x34f2, v70
	v_fmac_f16_e32 v65, 0x34f2, v70
	s_delay_alu instid0(VALU_DEP_2) | instskip(NEXT) | instid1(VALU_DEP_2)
	v_pack_b32_f16 v66, v207, v213
	v_pack_b32_f16 v67, v65, v206
	ds_store_b32 v98, v66 offset:4480
	v_pack_b32_f16 v66, v208, v212
	ds_store_b32 v98, v67 offset:6048
	ds_store_b32 v98, v66 offset:7616
	v_add_co_u32 v66, s1, 0x1000, v68
	s_delay_alu instid0(VALU_DEP_1)
	v_add_co_ci_u32_e64 v67, s1, 0, v69, s1
	s_waitcnt lgkmcnt(0)
	s_barrier
	buffer_gl0_inv
	global_load_b32 v70, v[66:67], off offset:3744
	v_add_co_u32 v66, s1, 0x3000, v68
	s_delay_alu instid0(VALU_DEP_1)
	v_add_co_ci_u32_e64 v67, s1, 0, v69, s1
	s_clause 0x3
	global_load_b32 v86, v[66:67], off offset:816
	global_load_b32 v88, v[66:67], off offset:144
	;; [unrolled: 1-line block ×4, first 2 shown]
	ds_load_2addr_b32 v[71:72], v98 offset1:56
	s_waitcnt lgkmcnt(0)
	v_lshrrev_b32_e32 v74, 16, v71
	s_waitcnt vmcnt(4)
	v_lshrrev_b32_e32 v73, 16, v70
	s_delay_alu instid0(VALU_DEP_1) | instskip(NEXT) | instid1(VALU_DEP_3)
	v_mul_f16_e32 v75, v71, v73
	v_mul_f16_e32 v73, v74, v73
	s_delay_alu instid0(VALU_DEP_2) | instskip(NEXT) | instid1(VALU_DEP_2)
	v_fmac_f16_e32 v75, v74, v70
	v_fma_f16 v70, v71, v70, -v73
	s_delay_alu instid0(VALU_DEP_1)
	v_pack_b32_f16 v70, v70, v75
	ds_store_b32 v98, v70
	s_clause 0x1
	global_load_b32 v73, v[66:67], off offset:1656
	global_load_b32 v91, v[66:67], off offset:1432
	ds_load_2addr_b32 v[70:71], v183 offset0:190 offset1:246
	s_waitcnt lgkmcnt(0)
	v_lshrrev_b32_e32 v75, 16, v71
	s_waitcnt vmcnt(1)
	v_lshrrev_b32_e32 v74, 16, v73
	s_delay_alu instid0(VALU_DEP_1) | instskip(NEXT) | instid1(VALU_DEP_3)
	v_mul_f16_e32 v77, v71, v74
	v_mul_f16_e32 v74, v75, v74
	s_delay_alu instid0(VALU_DEP_2) | instskip(NEXT) | instid1(VALU_DEP_2)
	v_fmac_f16_e32 v77, v75, v73
	v_fma_f16 v71, v71, v73, -v74
	v_add_co_u32 v73, s1, 0x2000, v68
	s_delay_alu instid0(VALU_DEP_1)
	v_add_co_ci_u32_e64 v74, s1, 0, v69, s1
	s_clause 0x5
	global_load_b32 v78, v[66:67], off offset:1880
	global_load_b32 v92, v[66:67], off offset:2776
	global_load_b32 v93, v[73:74], off offset:4016
	global_load_b32 v94, v[66:67], off offset:2104
	global_load_b32 v95, v[66:67], off offset:3000
	global_load_b32 v96, v[66:67], off offset:2328
	ds_load_2addr_b32 v[75:76], v80 offset0:46 offset1:102
	v_pack_b32_f16 v71, v71, v77
	v_add_nc_u32_e32 v77, 0x1600, v98
	s_waitcnt lgkmcnt(0)
	v_lshrrev_b32_e32 v85, 16, v75
	s_waitcnt vmcnt(5)
	v_lshrrev_b32_e32 v84, 16, v78
	s_delay_alu instid0(VALU_DEP_1) | instskip(NEXT) | instid1(VALU_DEP_3)
	v_mul_f16_e32 v87, v75, v84
	v_mul_f16_e32 v84, v85, v84
	s_delay_alu instid0(VALU_DEP_2) | instskip(NEXT) | instid1(VALU_DEP_2)
	v_fmac_f16_e32 v87, v85, v78
	v_fma_f16 v75, v75, v78, -v84
	s_delay_alu instid0(VALU_DEP_1)
	v_pack_b32_f16 v75, v75, v87
	ds_store_2addr_b32 v77, v71, v75 offset0:118 offset1:174
	s_clause 0x1
	global_load_b32 v71, v[66:67], off offset:592
	global_load_b32 v66, v[66:67], off offset:2552
	ds_load_2addr_b32 v[77:78], v186 offset0:180 offset1:236
	s_waitcnt lgkmcnt(0)
	v_lshrrev_b32_e32 v84, 16, v78
	s_waitcnt vmcnt(1)
	v_lshrrev_b32_e32 v75, 16, v71
	s_waitcnt vmcnt(0)
	v_lshrrev_b32_e32 v67, 16, v66
	s_delay_alu instid0(VALU_DEP_2) | instskip(SKIP_1) | instid1(VALU_DEP_2)
	v_mul_f16_e32 v87, v78, v75
	v_mul_f16_e32 v75, v84, v75
	v_fmac_f16_e32 v87, v84, v71
	ds_load_2addr_b32 v[84:85], v183 offset0:36 offset1:92
	v_fma_f16 v71, v78, v71, -v75
	v_lshrrev_b32_e32 v75, 16, v86
	s_delay_alu instid0(VALU_DEP_2) | instskip(SKIP_2) | instid1(VALU_DEP_3)
	v_pack_b32_f16 v71, v71, v87
	s_waitcnt lgkmcnt(0)
	v_lshrrev_b32_e32 v78, 16, v84
	v_mul_f16_e32 v97, v84, v75
	s_delay_alu instid0(VALU_DEP_2) | instskip(NEXT) | instid1(VALU_DEP_2)
	v_mul_f16_e32 v75, v78, v75
	v_fmac_f16_e32 v97, v78, v86
	s_delay_alu instid0(VALU_DEP_2)
	v_fma_f16 v75, v84, v86, -v75
	ds_load_2addr_b32 v[86:87], v203 offset0:14 offset1:70
	v_pack_b32_f16 v75, v75, v97
	ds_store_2addr_b32 v83, v71, v75 offset0:108 offset1:164
	ds_load_2addr_b32 v[83:84], v80 offset0:158 offset1:214
	s_waitcnt lgkmcnt(0)
	v_lshrrev_b32_e32 v71, 16, v84
	v_mul_f16_e32 v75, v84, v67
	s_delay_alu instid0(VALU_DEP_2) | instskip(NEXT) | instid1(VALU_DEP_2)
	v_mul_f16_e32 v67, v71, v67
	v_fmac_f16_e32 v75, v71, v66
	v_lshrrev_b32_e32 v71, 16, v86
	s_delay_alu instid0(VALU_DEP_3) | instskip(SKIP_1) | instid1(VALU_DEP_2)
	v_fma_f16 v66, v84, v66, -v67
	v_lshrrev_b32_e32 v67, 16, v92
	v_pack_b32_f16 v66, v66, v75
	s_delay_alu instid0(VALU_DEP_2) | instskip(SKIP_1) | instid1(VALU_DEP_2)
	v_mul_f16_e32 v78, v86, v67
	v_mul_f16_e32 v67, v71, v67
	v_fmac_f16_e32 v78, v71, v92
	s_delay_alu instid0(VALU_DEP_2) | instskip(SKIP_1) | instid1(VALU_DEP_2)
	v_fma_f16 v67, v86, v92, -v67
	v_add_nc_u32_e32 v71, 0x1a00, v98
	v_pack_b32_f16 v67, v67, v78
	ds_store_2addr_b32 v71, v66, v67 offset0:86 offset1:142
	v_lshrrev_b32_e32 v67, 16, v91
	v_lshrrev_b32_e32 v66, 16, v70
	s_delay_alu instid0(VALU_DEP_2) | instskip(NEXT) | instid1(VALU_DEP_2)
	v_mul_f16_e32 v75, v70, v67
	v_mul_f16_e32 v71, v66, v67
	s_delay_alu instid0(VALU_DEP_2) | instskip(SKIP_1) | instid1(VALU_DEP_1)
	v_fmac_f16_e32 v75, v66, v91
	v_add_co_u32 v66, s1, 0x1ea0, v68
	v_add_co_ci_u32_e64 v67, s1, 0, v69, s1
	s_delay_alu instid0(VALU_DEP_4)
	v_fma_f16 v78, v70, v91, -v71
	v_lshrrev_b32_e32 v69, 16, v72
	s_clause 0x6
	global_load_b32 v68, v[66:67], off offset:224
	global_load_b32 v71, v[66:67], off offset:448
	;; [unrolled: 1-line block ×7, first 2 shown]
	s_waitcnt vmcnt(6)
	v_lshrrev_b32_e32 v70, 16, v68
	s_delay_alu instid0(VALU_DEP_1) | instskip(SKIP_1) | instid1(VALU_DEP_2)
	v_mul_f16_e64 v214, v69, v70
	v_mul_f16_e64 v215, v72, v70
	v_fma_f16 v72, v72, v68, -v214
	global_load_b32 v214, v[66:67], off offset:1960
	v_fmac_f16_e64 v215, v69, v68
	v_add_nc_u32_e32 v68, 0x600, v98
	ds_load_2addr_b32 v[69:70], v68 offset0:106 offset1:162
	s_waitcnt lgkmcnt(0)
	v_lshrrev_b32_e32 v217, 16, v69
	s_waitcnt vmcnt(0)
	v_lshrrev_b32_e32 v216, 16, v214
	s_delay_alu instid0(VALU_DEP_1) | instskip(NEXT) | instid1(VALU_DEP_3)
	v_mul_f16_e64 v218, v69, v216
	v_mul_f16_e64 v216, v217, v216
	s_delay_alu instid0(VALU_DEP_2) | instskip(NEXT) | instid1(VALU_DEP_2)
	v_fmac_f16_e64 v218, v217, v214
	v_fma_f16 v214, v69, v214, -v216
	s_clause 0x8
	global_load_b32 v69, v[66:67], off offset:2184
	global_load_b32 v217, v[66:67], off offset:2408
	;; [unrolled: 1-line block ×9, first 2 shown]
	v_lshrrev_b32_e32 v216, 16, v70
	s_waitcnt vmcnt(8)
	v_lshrrev_b32_e32 v180, 16, v69
	s_delay_alu instid0(VALU_DEP_1) | instskip(SKIP_1) | instid1(VALU_DEP_2)
	v_mul_f16_e64 v226, v216, v180
	v_mul_f16_e64 v180, v70, v180
	v_fma_f16 v226, v70, v69, -v226
	s_delay_alu instid0(VALU_DEP_2)
	v_fmac_f16_e64 v180, v216, v69
	ds_load_2addr_b32 v[69:70], v82 offset0:84 offset1:140
	s_waitcnt vmcnt(0)
	v_lshrrev_b32_e32 v216, 16, v74
	s_waitcnt lgkmcnt(0)
	v_lshrrev_b32_e32 v99, 16, v69
	s_delay_alu instid0(VALU_DEP_2) | instskip(NEXT) | instid1(VALU_DEP_2)
	v_mul_f16_e64 v100, v69, v216
	v_mul_f16_e64 v216, v99, v216
	s_delay_alu instid0(VALU_DEP_2) | instskip(NEXT) | instid1(VALU_DEP_2)
	v_fmac_f16_e32 v100, v99, v74
	v_fma_f16 v99, v69, v74, -v216
	v_lshrrev_b32_e32 v69, 16, v70
	v_lshrrev_b32_e32 v74, 16, v73
	s_delay_alu instid0(VALU_DEP_1) | instskip(SKIP_1) | instid1(VALU_DEP_2)
	v_mul_f16_e64 v216, v69, v74
	v_mul_f16_e32 v103, v70, v74
	v_fma_f16 v216, v70, v73, -v216
	s_delay_alu instid0(VALU_DEP_2) | instskip(SKIP_4) | instid1(VALU_DEP_2)
	v_fmac_f16_e32 v103, v69, v73
	ds_load_2addr_b32 v[69:70], v98 offset0:112 offset1:168
	v_lshrrev_b32_e32 v73, 16, v71
	s_waitcnt lgkmcnt(0)
	v_lshrrev_b32_e32 v74, 16, v69
	v_mul_f16_e32 v105, v69, v73
	s_delay_alu instid0(VALU_DEP_2) | instskip(NEXT) | instid1(VALU_DEP_2)
	v_mul_f16_e32 v73, v74, v73
	v_fmac_f16_e32 v105, v74, v71
	s_delay_alu instid0(VALU_DEP_2) | instskip(SKIP_1) | instid1(VALU_DEP_2)
	v_fma_f16 v69, v69, v71, -v73
	v_pack_b32_f16 v71, v72, v215
	v_pack_b32_f16 v69, v69, v105
	ds_store_2addr_b32 v98, v71, v69 offset0:56 offset1:112
	ds_load_2addr_b32 v[71:72], v81 offset0:90 offset1:146
	v_lshrrev_b32_e32 v69, 16, v217
	s_waitcnt lgkmcnt(0)
	v_lshrrev_b32_e32 v73, 16, v71
	s_delay_alu instid0(VALU_DEP_2) | instskip(NEXT) | instid1(VALU_DEP_2)
	v_mul_f16_e32 v74, v71, v69
	v_mul_f16_e32 v69, v73, v69
	s_delay_alu instid0(VALU_DEP_2) | instskip(NEXT) | instid1(VALU_DEP_2)
	v_fmac_f16_e64 v74, v73, v217
	v_fma_f16 v69, v71, v217, -v69
	v_pack_b32_f16 v71, v226, v180
	s_delay_alu instid0(VALU_DEP_2)
	v_pack_b32_f16 v69, v69, v74
	ds_load_2addr_b32 v[73:74], v186 offset0:68 offset1:124
	ds_store_2addr_b32 v81, v71, v69 offset0:34 offset1:90
	v_lshrrev_b32_e32 v69, 16, v93
	s_waitcnt lgkmcnt(1)
	v_lshrrev_b32_e32 v71, 16, v73
	s_delay_alu instid0(VALU_DEP_2) | instskip(NEXT) | instid1(VALU_DEP_2)
	v_mul_f16_e32 v105, v73, v69
	v_mul_f16_e32 v69, v71, v69
	s_delay_alu instid0(VALU_DEP_2) | instskip(SKIP_1) | instid1(VALU_DEP_3)
	v_fmac_f16_e32 v105, v71, v93
	v_pack_b32_f16 v71, v216, v103
	v_fma_f16 v69, v73, v93, -v69
	s_delay_alu instid0(VALU_DEP_1) | instskip(SKIP_3) | instid1(VALU_DEP_1)
	v_pack_b32_f16 v69, v69, v105
	ds_store_2addr_b32 v186, v71, v69 offset0:12 offset1:68
	v_lshrrev_b32_e32 v69, 16, v70
	v_lshrrev_b32_e32 v71, 16, v84
	v_mul_f16_e32 v73, v69, v71
	v_mul_f16_e32 v71, v70, v71
	s_delay_alu instid0(VALU_DEP_2) | instskip(SKIP_1) | instid1(VALU_DEP_3)
	v_fma_f16 v73, v70, v84, -v73
	v_lshrrev_b32_e32 v70, 16, v219
	v_fmac_f16_e32 v71, v69, v84
	v_lshrrev_b32_e32 v69, 16, v72
	s_delay_alu instid0(VALU_DEP_3) | instskip(NEXT) | instid1(VALU_DEP_3)
	v_mul_f16_e32 v93, v72, v70
	v_pack_b32_f16 v71, v73, v71
	s_delay_alu instid0(VALU_DEP_3)
	v_mul_f16_e32 v84, v69, v70
	v_lshrrev_b32_e32 v70, 16, v88
	v_lshrrev_b32_e32 v73, 16, v230
	v_fmac_f16_e64 v93, v69, v219
	v_lshrrev_b32_e32 v69, 16, v74
	v_fma_f16 v84, v72, v219, -v84
	v_mul_f16_e32 v103, v74, v70
	s_delay_alu instid0(VALU_DEP_3) | instskip(SKIP_1) | instid1(VALU_DEP_3)
	v_mul_f16_e32 v72, v69, v70
	v_lshrrev_b32_e32 v70, 16, v94
	v_fmac_f16_e32 v103, v69, v88
	v_lshrrev_b32_e32 v69, 16, v76
	s_delay_alu instid0(VALU_DEP_4) | instskip(NEXT) | instid1(VALU_DEP_4)
	v_fma_f16 v74, v74, v88, -v72
	v_mul_f16_e32 v88, v76, v70
	s_delay_alu instid0(VALU_DEP_3) | instskip(SKIP_1) | instid1(VALU_DEP_3)
	v_mul_f16_e32 v72, v69, v70
	v_lshrrev_b32_e32 v70, 16, v90
	v_fmac_f16_e32 v88, v69, v94
	v_lshrrev_b32_e32 v69, 16, v77
	s_delay_alu instid0(VALU_DEP_4) | instskip(NEXT) | instid1(VALU_DEP_4)
	;; [unrolled: 8-line block ×3, first 2 shown]
	v_fma_f16 v77, v77, v90, -v72
	v_mul_f16_e32 v90, v83, v70
	s_delay_alu instid0(VALU_DEP_3) | instskip(NEXT) | instid1(VALU_DEP_2)
	v_mul_f16_e32 v72, v69, v70
	v_fmac_f16_e32 v90, v69, v96
	ds_load_2addr_b32 v[69:70], v79 offset0:96 offset1:152
	v_fma_f16 v83, v83, v96, -v72
	v_lshrrev_b32_e32 v72, 16, v86
	s_waitcnt lgkmcnt(0)
	v_lshrrev_b32_e32 v96, 16, v69
	s_delay_alu instid0(VALU_DEP_2) | instskip(NEXT) | instid1(VALU_DEP_2)
	v_mul_f16_e32 v105, v69, v72
	v_mul_f16_e32 v72, v96, v72
	s_delay_alu instid0(VALU_DEP_2) | instskip(NEXT) | instid1(VALU_DEP_2)
	v_fmac_f16_e32 v105, v96, v86
	v_fma_f16 v69, v69, v86, -v72
	s_delay_alu instid0(VALU_DEP_1)
	v_pack_b32_f16 v69, v69, v105
	ds_store_2addr_b32 v98, v71, v69 offset0:168 offset1:224
	v_add_nc_u32_e32 v69, 0xa00, v98
	ds_load_2addr_b32 v[71:72], v69 offset0:74 offset1:130
	s_waitcnt lgkmcnt(0)
	v_lshrrev_b32_e32 v86, 16, v71
	v_mul_f16_e32 v96, v71, v73
	s_delay_alu instid0(VALU_DEP_2) | instskip(NEXT) | instid1(VALU_DEP_2)
	v_mul_f16_e32 v73, v86, v73
	v_fmac_f16_e64 v96, v86, v230
	s_delay_alu instid0(VALU_DEP_2) | instskip(SKIP_1) | instid1(VALU_DEP_2)
	v_fma_f16 v71, v71, v230, -v73
	v_pack_b32_f16 v73, v84, v93
	v_pack_b32_f16 v71, v71, v96
	ds_store_2addr_b32 v81, v73, v71 offset0:146 offset1:202
	v_pack_b32_f16 v71, v74, v103
	v_pack_b32_f16 v73, v77, v94
	ds_store_2addr_b32 v186, v71, v73 offset0:124 offset1:180
	;; [unrolled: 3-line block ×3, first 2 shown]
	v_lshrrev_b32_e32 v71, 16, v70
	v_lshrrev_b32_e32 v73, 16, v91
	s_delay_alu instid0(VALU_DEP_1) | instskip(SKIP_1) | instid1(VALU_DEP_2)
	v_mul_f16_e32 v74, v71, v73
	v_mul_f16_e32 v73, v70, v73
	v_fma_f16 v74, v70, v91, -v74
	s_delay_alu instid0(VALU_DEP_2) | instskip(SKIP_2) | instid1(VALU_DEP_2)
	v_fmac_f16_e32 v73, v71, v91
	v_lshrrev_b32_e32 v71, 16, v231
	v_lshrrev_b32_e32 v70, 16, v72
	v_mul_f16_e32 v77, v72, v71
	s_delay_alu instid0(VALU_DEP_2) | instskip(NEXT) | instid1(VALU_DEP_2)
	v_mul_f16_e32 v76, v70, v71
	v_fmac_f16_e64 v77, v70, v231
	ds_load_2addr_b32 v[70:71], v205 offset0:80 offset1:136
	v_fma_f16 v76, v72, v231, -v76
	v_lshrrev_b32_e32 v72, 16, v92
	s_waitcnt lgkmcnt(0)
	v_lshrrev_b32_e32 v83, 16, v70
	s_delay_alu instid0(VALU_DEP_2) | instskip(NEXT) | instid1(VALU_DEP_2)
	v_mul_f16_e32 v84, v70, v72
	v_mul_f16_e32 v72, v83, v72
	s_delay_alu instid0(VALU_DEP_2) | instskip(NEXT) | instid1(VALU_DEP_2)
	v_fmac_f16_e32 v84, v83, v92
	v_fma_f16 v70, v70, v92, -v72
	v_pack_b32_f16 v72, v74, v73
	s_delay_alu instid0(VALU_DEP_2)
	v_pack_b32_f16 v70, v70, v84
	ds_store_2addr_b32 v205, v72, v70 offset0:24 offset1:80
	ds_load_2addr_b32 v[72:73], v184 offset0:58 offset1:114
	v_lshrrev_b32_e32 v70, 16, v228
	s_waitcnt lgkmcnt(0)
	v_lshrrev_b32_e32 v74, 16, v72
	s_delay_alu instid0(VALU_DEP_2) | instskip(NEXT) | instid1(VALU_DEP_2)
	v_mul_f16_e32 v83, v72, v70
	v_mul_f16_e32 v70, v74, v70
	s_delay_alu instid0(VALU_DEP_2) | instskip(NEXT) | instid1(VALU_DEP_2)
	v_fmac_f16_e64 v83, v74, v228
	v_fma_f16 v70, v72, v228, -v70
	v_pack_b32_f16 v72, v76, v77
	s_delay_alu instid0(VALU_DEP_2) | instskip(SKIP_4) | instid1(VALU_DEP_1)
	v_pack_b32_f16 v70, v70, v83
	v_lshrrev_b32_e32 v83, 16, v95
	ds_store_2addr_b32 v184, v72, v70 offset0:2 offset1:58
	v_lshrrev_b32_e32 v70, 16, v71
	v_lshrrev_b32_e32 v72, 16, v97
	v_mul_f16_e32 v74, v70, v72
	v_mul_f16_e32 v72, v71, v72
	s_delay_alu instid0(VALU_DEP_2) | instskip(NEXT) | instid1(VALU_DEP_2)
	v_fma_f16 v71, v71, v97, -v74
	v_fmac_f16_e32 v72, v70, v97
	v_lshrrev_b32_e32 v70, 16, v73
	v_lshrrev_b32_e32 v74, 16, v174
	s_delay_alu instid0(VALU_DEP_3) | instskip(NEXT) | instid1(VALU_DEP_2)
	v_pack_b32_f16 v71, v71, v72
	v_mul_f16_e32 v76, v70, v74
	v_mul_f16_e32 v74, v73, v74
	s_delay_alu instid0(VALU_DEP_2) | instskip(NEXT) | instid1(VALU_DEP_2)
	v_fma_f16 v73, v73, v174, -v76
	v_fmac_f16_e64 v74, v70, v174
	v_lshrrev_b32_e32 v70, 16, v85
	v_lshrrev_b32_e32 v76, 16, v89
	s_delay_alu instid0(VALU_DEP_1) | instskip(SKIP_1) | instid1(VALU_DEP_2)
	v_mul_f16_e32 v77, v70, v76
	v_mul_f16_e32 v76, v85, v76
	v_fma_f16 v77, v85, v89, -v77
	s_delay_alu instid0(VALU_DEP_2) | instskip(SKIP_1) | instid1(VALU_DEP_1)
	v_fmac_f16_e32 v76, v70, v89
	v_lshrrev_b32_e32 v70, 16, v87
	v_mul_f16_e32 v84, v70, v83
	v_mul_f16_e32 v83, v87, v83
	s_delay_alu instid0(VALU_DEP_2) | instskip(NEXT) | instid1(VALU_DEP_2)
	v_fma_f16 v84, v87, v95, -v84
	v_fmac_f16_e32 v83, v70, v95
	v_pack_b32_f16 v70, v214, v218
	ds_store_2addr_b32 v205, v71, v70 offset0:136 offset1:234
	v_pack_b32_f16 v70, v99, v100
	v_pack_b32_f16 v71, v73, v74
	ds_store_2addr_b32 v184, v71, v70 offset0:114 offset1:212
	v_pack_b32_f16 v70, v78, v75
	;; [unrolled: 3-line block ×3, first 2 shown]
	ds_store_b32 v98, v70 offset:7448
	s_and_saveexec_b32 s2, vcc_lo
	s_cbranch_execz .LBB0_15
; %bb.14:
	s_clause 0x1
	global_load_b32 v70, v[66:67], off offset:1792
	global_load_b32 v71, v[66:67], off offset:3752
	v_add_co_u32 v66, s1, 0x1000, v66
	s_delay_alu instid0(VALU_DEP_1)
	v_add_co_ci_u32_e64 v67, s1, 0, v67, s1
	s_clause 0x1
	global_load_b32 v72, v[66:67], off offset:1616
	global_load_b32 v66, v[66:67], off offset:3576
	ds_load_b32 v67, v98 offset:1792
	ds_load_b32 v73, v98 offset:3752
	;; [unrolled: 1-line block ×4, first 2 shown]
	s_waitcnt lgkmcnt(3)
	v_lshrrev_b32_e32 v76, 16, v67
	s_waitcnt lgkmcnt(2)
	v_lshrrev_b32_e32 v78, 16, v73
	;; [unrolled: 2-line block ×4, first 2 shown]
	s_waitcnt vmcnt(3)
	v_lshrrev_b32_e32 v77, 16, v70
	s_waitcnt vmcnt(2)
	v_lshrrev_b32_e32 v83, 16, v71
	s_delay_alu instid0(VALU_DEP_2) | instskip(SKIP_1) | instid1(VALU_DEP_3)
	v_mul_f16_e32 v86, v76, v77
	v_mul_f16_e32 v77, v67, v77
	;; [unrolled: 1-line block ×3, first 2 shown]
	s_waitcnt vmcnt(1)
	v_lshrrev_b32_e32 v88, 16, v72
	s_waitcnt vmcnt(0)
	v_lshrrev_b32_e32 v89, 16, v66
	v_mul_f16_e32 v83, v73, v83
	v_fma_f16 v67, v67, v70, -v86
	v_fmac_f16_e32 v77, v76, v70
	v_fma_f16 v70, v73, v71, -v87
	v_mul_f16_e32 v73, v84, v88
	v_mul_f16_e32 v76, v74, v88
	;; [unrolled: 1-line block ×4, first 2 shown]
	v_fmac_f16_e32 v83, v78, v71
	v_fma_f16 v71, v74, v72, -v73
	v_fmac_f16_e32 v76, v84, v72
	v_fma_f16 v72, v75, v66, -v86
	v_fmac_f16_e32 v87, v85, v66
	v_pack_b32_f16 v66, v67, v77
	v_pack_b32_f16 v67, v70, v83
	;; [unrolled: 1-line block ×3, first 2 shown]
	s_delay_alu instid0(VALU_DEP_4)
	v_pack_b32_f16 v71, v72, v87
	ds_store_b32 v98, v66 offset:1792
	ds_store_b32 v98, v67 offset:3752
	;; [unrolled: 1-line block ×4, first 2 shown]
.LBB0_15:
	s_or_b32 exec_lo, exec_lo, s2
	s_waitcnt lgkmcnt(0)
	s_barrier
	buffer_gl0_inv
	ds_load_2addr_b32 v[90:91], v98 offset1:56
	ds_load_2addr_b32 v[92:93], v68 offset0:106 offset1:162
	ds_load_2addr_b32 v[94:95], v82 offset0:84 offset1:140
	;; [unrolled: 1-line block ×15, first 2 shown]
	s_and_saveexec_b32 s1, vcc_lo
	s_cbranch_execz .LBB0_17
; %bb.16:
	ds_load_b32 v207, v98 offset:1792
	ds_load_b32 v65, v98 offset:3752
	ds_load_b32 v208, v98 offset:5712
	ds_load_b32 v177, v98 offset:7672
	s_waitcnt lgkmcnt(3)
	v_lshrrev_b32_e32 v213, 16, v207
	s_waitcnt lgkmcnt(2)
	v_lshrrev_b32_e32 v206, 16, v65
	;; [unrolled: 2-line block ×4, first 2 shown]
.LBB0_17:
	s_or_b32 exec_lo, exec_lo, s1
	s_waitcnt lgkmcnt(12)
	v_pk_add_f16 v96, v92, v96 neg_lo:[0,1] neg_hi:[0,1]
	v_pk_add_f16 v94, v90, v94 neg_lo:[0,1] neg_hi:[0,1]
	s_waitcnt lgkmcnt(9)
	v_pk_add_f16 v86, v82, v86 neg_lo:[0,1] neg_hi:[0,1]
	s_waitcnt lgkmcnt(8)
	;; [unrolled: 2-line block ×3, first 2 shown]
	v_pk_fma_f16 v92, v92, 2.0, v96 op_sel_hi:[1,0,1] neg_lo:[0,0,1] neg_hi:[0,0,1]
	v_pk_fma_f16 v90, v90, 2.0, v94 op_sel_hi:[1,0,1] neg_lo:[0,0,1] neg_hi:[0,0,1]
	v_lshrrev_b32_e32 v99, 16, v96
	v_lshrrev_b32_e32 v100, 16, v94
	s_barrier
	buffer_gl0_inv
	v_pk_add_f16 v216, v90, v92 neg_lo:[0,1] neg_hi:[0,1]
	v_add_f16_e32 v99, v94, v99
	v_pk_add_f16 v92, v93, v97 neg_lo:[0,1] neg_hi:[0,1]
	v_sub_f16_e32 v103, v100, v96
	v_pk_fma_f16 v82, v82, 2.0, v86 op_sel_hi:[1,0,1] neg_lo:[0,0,1] neg_hi:[0,0,1]
	v_pk_fma_f16 v214, v90, 2.0, v216 op_sel_hi:[1,0,1] neg_lo:[0,0,1] neg_hi:[0,0,1]
	v_pk_add_f16 v90, v91, v95 neg_lo:[0,1] neg_hi:[0,1]
	v_fma_f16 v105, v94, 2.0, -v99
	v_pk_fma_f16 v95, v93, 2.0, v92 op_sel_hi:[1,0,1] neg_lo:[0,0,1] neg_hi:[0,0,1]
	v_fma_f16 v100, v100, 2.0, -v103
	v_pack_b32_f16 v217, v99, v103
	v_pk_fma_f16 v94, v91, 2.0, v90 op_sel_hi:[1,0,1] neg_lo:[0,0,1] neg_hi:[0,0,1]
	v_lshrrev_b32_e32 v91, 16, v92
	v_lshrrev_b32_e32 v93, 16, v90
	v_pack_b32_f16 v215, v105, v100
	v_pk_fma_f16 v84, v84, 2.0, v88 op_sel_hi:[1,0,1] neg_lo:[0,0,1] neg_hi:[0,0,1]
	v_pk_add_f16 v81, v75, v81 neg_lo:[0,1] neg_hi:[0,1]
	v_add_f16_e32 v91, v90, v91
	v_sub_f16_e32 v92, v93, v92
	ds_store_b128 v118, v[214:217]
	v_pk_add_f16 v79, v77, v79 neg_lo:[0,1] neg_hi:[0,1]
	v_pk_add_f16 v70, v68, v70 neg_lo:[0,1] neg_hi:[0,1]
	v_fma_f16 v90, v90, 2.0, -v91
	v_fma_f16 v96, v93, 2.0, -v92
	v_pack_b32_f16 v93, v91, v92
	v_pk_add_f16 v92, v94, v95 neg_lo:[0,1] neg_hi:[0,1]
	v_pk_fma_f16 v75, v75, 2.0, v81 op_sel_hi:[1,0,1] neg_lo:[0,0,1] neg_hi:[0,0,1]
	v_pk_add_f16 v71, v69, v71 neg_lo:[0,1] neg_hi:[0,1]
	v_pack_b32_f16 v91, v90, v96
	v_pk_add_f16 v73, v67, v73 neg_lo:[0,1] neg_hi:[0,1]
	v_pk_fma_f16 v90, v94, 2.0, v92 op_sel_hi:[1,0,1] neg_lo:[0,0,1] neg_hi:[0,0,1]
	s_delay_alu instid0(VALU_DEP_4) | instskip(SKIP_4) | instid1(VALU_DEP_2)
	v_pk_fma_f16 v95, v69, 2.0, v71 op_sel_hi:[1,0,1] neg_lo:[0,0,1] neg_hi:[0,0,1]
	v_lshrrev_b32_e32 v69, 16, v71
	ds_store_b128 v115, v[90:93]
	v_lshrrev_b32_e32 v90, 16, v86
	v_lshrrev_b32_e32 v91, 16, v88
	v_sub_f16_e32 v92, v90, v88
	s_delay_alu instid0(VALU_DEP_2) | instskip(SKIP_1) | instid1(VALU_DEP_3)
	v_add_f16_e32 v91, v86, v91
	v_pk_add_f16 v88, v76, v78 neg_lo:[0,1] neg_hi:[0,1]
	v_fma_f16 v90, v90, 2.0, -v92
	s_delay_alu instid0(VALU_DEP_3)
	v_fma_f16 v94, v86, 2.0, -v91
	v_pack_b32_f16 v93, v91, v92
	v_pk_add_f16 v92, v82, v84 neg_lo:[0,1] neg_hi:[0,1]
	v_pk_add_f16 v84, v83, v87 neg_lo:[0,1] neg_hi:[0,1]
	v_pk_fma_f16 v76, v76, 2.0, v88 op_sel_hi:[1,0,1] neg_lo:[0,0,1] neg_hi:[0,0,1]
	v_pack_b32_f16 v91, v94, v90
	v_pk_fma_f16 v94, v77, 2.0, v79 op_sel_hi:[1,0,1] neg_lo:[0,0,1] neg_hi:[0,0,1]
	v_pk_fma_f16 v90, v82, 2.0, v92 op_sel_hi:[1,0,1] neg_lo:[0,0,1] neg_hi:[0,0,1]
	v_pk_add_f16 v82, v85, v89 neg_lo:[0,1] neg_hi:[0,1]
	v_lshrrev_b32_e32 v87, 16, v84
	v_pk_add_f16 v89, v74, v80 neg_lo:[0,1] neg_hi:[0,1]
	ds_store_b128 v116, v[90:93]
	v_lshrrev_b32_e32 v86, 16, v82
	v_pk_fma_f16 v85, v85, 2.0, v82 op_sel_hi:[1,0,1] neg_lo:[0,0,1] neg_hi:[0,0,1]
	v_sub_f16_e32 v80, v87, v82
	v_lshrrev_b32_e32 v82, 16, v88
	v_pk_fma_f16 v91, v83, 2.0, v84 op_sel_hi:[1,0,1] neg_lo:[0,0,1] neg_hi:[0,0,1]
	v_add_f16_e32 v78, v84, v86
	v_lshrrev_b32_e32 v86, 16, v89
	v_lshrrev_b32_e32 v92, 16, v81
	;; [unrolled: 1-line block ×3, first 2 shown]
	v_pk_fma_f16 v77, v74, 2.0, v89 op_sel_hi:[1,0,1] neg_lo:[0,0,1] neg_hi:[0,0,1]
	v_fma_f16 v83, v84, 2.0, -v78
	v_fma_f16 v84, v87, 2.0, -v80
	v_sub_f16_e32 v87, v82, v89
	v_add_f16_e32 v86, v88, v86
	v_pack_b32_f16 v80, v78, v80
	v_pk_add_f16 v89, v66, v72 neg_lo:[0,1] neg_hi:[0,1]
	v_pack_b32_f16 v78, v83, v84
	v_add_f16_e32 v83, v79, v92
	v_fma_f16 v90, v88, 2.0, -v86
	v_pack_b32_f16 v84, v86, v87
	v_sub_f16_e32 v86, v93, v81
	v_fma_f16 v82, v82, 2.0, -v87
	v_fma_f16 v79, v79, 2.0, -v83
	v_lshrrev_b32_e32 v81, 16, v70
	v_pk_fma_f16 v66, v66, 2.0, v89 op_sel_hi:[1,0,1] neg_lo:[0,0,1] neg_hi:[0,0,1]
	v_fma_f16 v87, v93, 2.0, -v86
	v_pack_b32_f16 v74, v83, v86
	v_pack_b32_f16 v82, v90, v82
	v_sub_f16_e32 v83, v81, v89
	s_delay_alu instid0(VALU_DEP_4) | instskip(SKIP_1) | instid1(VALU_DEP_3)
	v_pack_b32_f16 v72, v79, v87
	v_lshrrev_b32_e32 v79, 16, v89
	v_fma_f16 v81, v81, 2.0, -v83
	s_delay_alu instid0(VALU_DEP_2) | instskip(NEXT) | instid1(VALU_DEP_1)
	v_add_f16_e32 v79, v70, v79
	v_fma_f16 v86, v70, 2.0, -v79
	v_pk_fma_f16 v70, v68, 2.0, v70 op_sel_hi:[1,0,1] neg_lo:[0,0,1] neg_hi:[0,0,1]
	v_lshrrev_b32_e32 v68, 16, v73
	v_pack_b32_f16 v88, v79, v83
	v_pk_add_f16 v83, v76, v77 neg_lo:[0,1] neg_hi:[0,1]
	v_sub_f16_e32 v77, v69, v73
	v_pk_add_f16 v79, v91, v85 neg_lo:[0,1] neg_hi:[0,1]
	v_add_f16_e32 v68, v71, v68
	v_pk_fma_f16 v85, v67, 2.0, v73 op_sel_hi:[1,0,1] neg_lo:[0,0,1] neg_hi:[0,0,1]
	v_pk_add_f16 v73, v94, v75 neg_lo:[0,1] neg_hi:[0,1]
	v_fma_f16 v69, v69, 2.0, -v77
	v_pk_add_f16 v87, v70, v66 neg_lo:[0,1] neg_hi:[0,1]
	v_fma_f16 v71, v71, 2.0, -v68
	v_pack_b32_f16 v92, v68, v77
	v_sub_f16_e64 v66, v207, v208
	v_sub_f16_e64 v68, v206, v181
	;; [unrolled: 1-line block ×3, first 2 shown]
	v_pack_b32_f16 v90, v71, v69
	v_sub_f16_e64 v69, v65, v177
	v_pk_fma_f16 v77, v91, 2.0, v79 op_sel_hi:[1,0,1] neg_lo:[0,0,1] neg_hi:[0,0,1]
	v_pk_add_f16 v91, v95, v85 neg_lo:[0,1] neg_hi:[0,1]
	v_pk_fma_f16 v71, v94, 2.0, v73 op_sel_hi:[1,0,1] neg_lo:[0,0,1] neg_hi:[0,0,1]
	v_add_f16_e32 v93, v68, v66
	v_sub_f16_e32 v94, v67, v69
	v_pack_b32_f16 v86, v86, v81
	v_pk_fma_f16 v81, v76, 2.0, v83 op_sel_hi:[1,0,1] neg_lo:[0,0,1] neg_hi:[0,0,1]
	v_pk_fma_f16 v85, v70, 2.0, v87 op_sel_hi:[1,0,1] neg_lo:[0,0,1] neg_hi:[0,0,1]
	;; [unrolled: 1-line block ×3, first 2 shown]
	ds_store_b128 v48, v[77:80]
	ds_store_b128 v49, v[81:84]
	;; [unrolled: 1-line block ×5, first 2 shown]
	s_and_saveexec_b32 s1, vcc_lo
	s_cbranch_execz .LBB0_19
; %bb.18:
	v_fma_f16 v70, v207, 2.0, -v66
	v_fma_f16 v65, v65, 2.0, -v69
	;; [unrolled: 1-line block ×6, first 2 shown]
	v_sub_f16_e32 v65, v70, v65
	s_delay_alu instid0(VALU_DEP_4) | instskip(NEXT) | instid1(VALU_DEP_3)
	v_sub_f16_e32 v68, v69, v68
	v_pack_b32_f16 v66, v66, v67
	s_delay_alu instid0(VALU_DEP_3) | instskip(NEXT) | instid1(VALU_DEP_3)
	v_fma_f16 v70, v70, 2.0, -v65
	v_fma_f16 v69, v69, 2.0, -v68
	v_pack_b32_f16 v67, v65, v68
	v_perm_b32 v68, v94, v93, 0x5040100
	s_delay_alu instid0(VALU_DEP_3)
	v_pack_b32_f16 v65, v70, v69
	ds_store_b128 v112, v[65:68]
.LBB0_19:
	s_or_b32 exec_lo, exec_lo, s1
	v_add_nc_u32_e32 v69, 0x800, v98
	v_add_nc_u32_e32 v70, 0xc00, v98
	s_waitcnt lgkmcnt(0)
	s_barrier
	buffer_gl0_inv
	ds_load_2addr_b32 v[65:66], v69 offset0:48 offset1:104
	ds_load_2addr_b32 v[67:68], v70 offset0:16 offset1:72
	;; [unrolled: 1-line block ×4, first 2 shown]
	s_waitcnt lgkmcnt(3)
	v_lshrrev_b32_e32 v77, 16, v65
	v_lshrrev_b32_e32 v79, 16, v66
	v_mul_f16_e64 v84, v171, v65
	v_mul_f16_e64 v85, v171, v66
	s_waitcnt lgkmcnt(1)
	v_lshrrev_b32_e32 v82, 16, v72
	v_mul_f16_e64 v99, v171, v77
	v_mul_f16_e64 v180, v171, v79
	v_lshrrev_b32_e32 v89, 16, v67
	s_waitcnt lgkmcnt(0)
	v_lshrrev_b32_e32 v88, 16, v74
	v_mul_f16_e64 v76, v171, v82
	v_fmac_f16_e32 v99, v1, v65
	v_add_nc_u32_e32 v65, 0xe00, v98
	v_fmac_f16_e64 v180, v1, v66
	v_mul_f16_e64 v73, v171, v89
	v_mul_f16_e64 v181, v170, v88
	;; [unrolled: 1-line block ×3, first 2 shown]
	ds_load_2addr_b32 v[65:66], v65 offset0:112 offset1:168
	v_mul_f16_e64 v92, v171, v67
	v_fmac_f16_e32 v76, v1, v72
	v_fmac_f16_e32 v73, v1, v67
	v_fmac_f16_e64 v181, v2, v74
	v_mul_f16_e64 v72, v170, v74
	v_add_nc_u32_e32 v67, 0x400, v98
	v_lshrrev_b32_e32 v80, 16, v71
	v_lshrrev_b32_e32 v78, 16, v68
	;; [unrolled: 1-line block ×3, first 2 shown]
	v_mul_f16_e64 v86, v171, v71
	v_mul_f16_e64 v97, v170, v75
	;; [unrolled: 1-line block ×5, first 2 shown]
	v_fma_f16 v228, v1, v77, -v84
	v_fma_f16 v212, v1, v79, -v85
	v_fmac_f16_e32 v90, v1, v71
	v_mul_f16_e64 v71, v170, v68
	v_fmac_f16_e32 v100, v2, v68
	s_waitcnt lgkmcnt(0)
	v_lshrrev_b32_e32 v103, 16, v65
	v_lshrrev_b32_e32 v105, 16, v66
	v_mul_f16_e64 v183, v170, v65
	v_mul_f16_e64 v186, v170, v66
	v_fmac_f16_e32 v91, v2, v75
	v_mul_f16_e64 v81, v170, v103
	v_mul_f16_e64 v74, v170, v105
	v_add_nc_u32_e32 v68, 0x200, v98
	v_fma_f16 v230, v2, v78, -v71
	v_add_nc_u32_e32 v71, 0x1000, v98
	v_fmac_f16_e32 v81, v2, v65
	v_fmac_f16_e32 v74, v2, v66
	ds_load_2addr_b32 v[65:66], v67 offset0:80 offset1:136
	v_fma_f16 v85, v2, v103, -v183
	ds_load_2addr_b32 v[77:78], v71 offset0:96 offset1:152
	v_fma_f16 v87, v1, v82, -v87
	s_waitcnt lgkmcnt(1)
	v_lshrrev_b32_e32 v170, 16, v65
	v_lshrrev_b32_e32 v171, 16, v66
	v_mul_f16_e64 v174, v169, v65
	v_mul_f16_e64 v177, v169, v66
	s_waitcnt lgkmcnt(0)
	v_lshrrev_b32_e32 v84, 16, v77
	v_mul_f16_e64 v184, v169, v170
	v_mul_f16_e64 v96, v169, v171
	v_fma_f16 v213, v0, v170, -v174
	v_fma_f16 v171, v0, v171, -v177
	v_mul_f16_e64 v231, v168, v84
	v_fmac_f16_e64 v184, v0, v65
	v_fmac_f16_e32 v96, v0, v66
	ds_load_2addr_b32 v[65:66], v67 offset0:192 offset1:248
	v_fma_f16 v170, v1, v80, -v86
	v_fmac_f16_e64 v231, v3, v77
	v_mul_f16_e64 v77, v168, v77
	s_delay_alu instid0(VALU_DEP_1)
	v_fma_f16 v106, v3, v84, -v77
	s_waitcnt lgkmcnt(0)
	v_lshrrev_b32_e32 v203, 16, v65
	v_lshrrev_b32_e32 v206, 16, v66
	v_mul_f16_e64 v214, v169, v65
	v_mul_f16_e64 v215, v169, v66
	s_delay_alu instid0(VALU_DEP_4) | instskip(NEXT) | instid1(VALU_DEP_4)
	v_mul_f16_e64 v83, v169, v203
	v_mul_f16_e64 v75, v169, v206
	s_delay_alu instid0(VALU_DEP_2) | instskip(NEXT) | instid1(VALU_DEP_2)
	v_fmac_f16_e32 v83, v0, v65
	v_fmac_f16_e32 v75, v0, v66
	ds_load_2addr_b32 v[65:66], v68 offset0:96 offset1:152
	s_waitcnt lgkmcnt(0)
	v_lshrrev_b32_e32 v205, 16, v66
	v_mul_f16_e64 v207, v169, v66
	s_delay_alu instid0(VALU_DEP_2) | instskip(SKIP_1) | instid1(VALU_DEP_3)
	v_mul_f16_e64 v217, v169, v205
	v_lshrrev_b32_e32 v169, 16, v78
	v_fma_f16 v226, v0, v205, -v207
	v_fma_f16 v207, v2, v88, -v72
	v_add_nc_u32_e32 v72, 0x1200, v98
	v_fma_f16 v88, v0, v203, -v214
	v_mul_f16_e64 v205, v168, v169
	v_fmac_f16_e64 v217, v0, v66
	s_delay_alu instid0(VALU_DEP_2) | instskip(SKIP_1) | instid1(VALU_DEP_1)
	v_fmac_f16_e64 v205, v3, v78
	v_mul_f16_e64 v78, v168, v78
	v_fma_f16 v208, v3, v169, -v78
	ds_load_2addr_b32 v[77:78], v72 offset0:80 offset1:136
	v_fma_f16 v169, v2, v95, -v97
	s_waitcnt lgkmcnt(0)
	v_lshrrev_b32_e32 v79, 16, v77
	v_lshrrev_b32_e32 v80, 16, v78
	s_delay_alu instid0(VALU_DEP_2) | instskip(NEXT) | instid1(VALU_DEP_2)
	v_mul_f16_e64 v174, v168, v79
	v_mul_f16_e64 v84, v168, v80
	s_delay_alu instid0(VALU_DEP_2) | instskip(SKIP_1) | instid1(VALU_DEP_3)
	v_fmac_f16_e64 v174, v3, v77
	v_mul_f16_e64 v77, v168, v77
	v_fmac_f16_e32 v84, v3, v78
	v_mul_f16_e64 v78, v168, v78
	s_delay_alu instid0(VALU_DEP_3)
	v_fma_f16 v177, v3, v79, -v77
	v_fma_f16 v77, v2, v105, -v186
	v_add_nc_u32_e32 v2, 0x1400, v98
	v_fma_f16 v79, v0, v206, -v215
	v_fma_f16 v86, v3, v80, -v78
	;; [unrolled: 1-line block ×3, first 2 shown]
	ds_load_2addr_b32 v[214:215], v2 offset0:64 offset1:120
	s_waitcnt lgkmcnt(0)
	v_lshrrev_b32_e32 v1, 16, v214
	v_mul_f16_e64 v82, v168, v214
	v_lshrrev_b32_e32 v89, 16, v215
	v_mul_f16_e64 v95, v167, v215
	s_delay_alu instid0(VALU_DEP_4) | instskip(NEXT) | instid1(VALU_DEP_4)
	v_mul_f16_e64 v80, v168, v1
	v_fma_f16 v82, v3, v1, -v82
	ds_load_2addr_b32 v[0:1], v2 offset0:176 offset1:232
	v_mul_f16_e64 v103, v167, v89
	v_fma_f16 v115, v55, v89, -v95
	v_fmac_f16_e64 v80, v3, v214
	v_add_nc_u32_e32 v3, 0x1800, v98
	s_delay_alu instid0(VALU_DEP_4)
	v_fmac_f16_e64 v103, v55, v215
	s_waitcnt lgkmcnt(0)
	v_lshrrev_b32_e32 v97, 16, v0
	v_lshrrev_b32_e32 v105, 16, v1
	v_mul_f16_e64 v168, v167, v0
	v_mul_f16_e64 v203, v167, v1
	s_delay_alu instid0(VALU_DEP_4) | instskip(NEXT) | instid1(VALU_DEP_4)
	v_mul_f16_e64 v215, v167, v97
	v_mul_f16_e64 v183, v167, v105
	s_delay_alu instid0(VALU_DEP_4) | instskip(NEXT) | instid1(VALU_DEP_4)
	v_fma_f16 v216, v55, v97, -v168
	v_fma_f16 v203, v55, v105, -v203
	s_delay_alu instid0(VALU_DEP_4) | instskip(NEXT) | instid1(VALU_DEP_4)
	v_fmac_f16_e64 v215, v55, v0
	v_fmac_f16_e64 v183, v55, v1
	ds_load_2addr_b32 v[0:1], v3 offset0:32 offset1:88
	s_waitcnt lgkmcnt(0)
	v_lshrrev_b32_e32 v214, 16, v0
	v_lshrrev_b32_e32 v109, 16, v1
	v_mul_f16_e64 v110, v167, v0
	v_mul_f16_e64 v112, v167, v1
	s_delay_alu instid0(VALU_DEP_4) | instskip(NEXT) | instid1(VALU_DEP_4)
	v_mul_f16_e64 v92, v167, v214
	v_mul_f16_e64 v66, v167, v109
	s_delay_alu instid0(VALU_DEP_2) | instskip(NEXT) | instid1(VALU_DEP_2)
	v_fmac_f16_e32 v92, v55, v0
	v_fmac_f16_e32 v66, v55, v1
	ds_load_2addr_b32 v[0:1], v3 offset0:144 offset1:200
	s_waitcnt lgkmcnt(0)
	v_lshrrev_b32_e32 v89, 16, v0
	v_mul_f16_e64 v95, v166, v0
	v_mul_f16_e64 v167, v166, v1
	s_delay_alu instid0(VALU_DEP_3) | instskip(NEXT) | instid1(VALU_DEP_3)
	v_mul_f16_e64 v49, v166, v89
	v_fma_f16 v48, v56, v89, -v95
	v_lshrrev_b32_e32 v89, 16, v1
	v_add_nc_u32_e32 v95, 0x1c00, v98
	s_delay_alu instid0(VALU_DEP_4) | instskip(NEXT) | instid1(VALU_DEP_3)
	v_fmac_f16_e32 v49, v56, v0
	v_mul_f16_e64 v218, v166, v89
	v_fma_f16 v219, v56, v89, -v167
	v_fma_f16 v167, v55, v214, -v110
	v_add_f16_e32 v110, v99, v103
	v_fma_f16 v55, v55, v109, -v112
	v_fmac_f16_e64 v218, v56, v1
	ds_load_2addr_b32 v[0:1], v95 offset1:56
	v_add_f16_e64 v109, v226, v48
	v_sub_f16_e32 v99, v99, v103
	v_add_f16_e64 v103, v228, v115
	v_sub_f16_e64 v112, v228, v115
	v_add_f16_e64 v115, v100, v231
	v_sub_f16_e64 v100, v231, v100
	v_sub_f16_e64 v48, v226, v48
	s_delay_alu instid0(VALU_DEP_2) | instskip(SKIP_3) | instid1(VALU_DEP_2)
	v_add_f16_e64 v228, v100, v99
	s_waitcnt lgkmcnt(0)
	v_lshrrev_b32_e32 v168, 16, v0
	v_lshrrev_b32_e32 v116, 16, v1
	v_mul_f16_e64 v186, v166, v168
	s_delay_alu instid0(VALU_DEP_2) | instskip(NEXT) | instid1(VALU_DEP_2)
	v_mul_f16_e64 v97, v166, v116
	v_fmac_f16_e64 v186, v56, v0
	v_mul_f16_e64 v0, v166, v0
	s_delay_alu instid0(VALU_DEP_3) | instskip(SKIP_1) | instid1(VALU_DEP_3)
	v_fmac_f16_e32 v97, v56, v1
	v_mul_f16_e64 v1, v166, v1
	v_fma_f16 v206, v56, v168, -v0
	ds_load_b32 v0, v98 offset:7616
	v_fma_f16 v168, v56, v116, -v1
	v_add_f16_e64 v116, v230, v106
	v_sub_f16_e64 v106, v106, v230
	v_sub_f16_e64 v230, v100, v99
	s_delay_alu instid0(VALU_DEP_3) | instskip(NEXT) | instid1(VALU_DEP_3)
	v_sub_f16_e64 v226, v109, v116
	v_sub_f16_e32 v118, v106, v112
	v_add_f16_e64 v231, v106, v112
	v_sub_f16_e32 v106, v48, v106
	v_mul_f16_e64 v122, 0x3846, v230
	v_mul_f16_e64 v226, 0x3a52, v226
	v_mul_f16_e32 v118, 0x3846, v118
	v_add_f16_e64 v120, v231, v48
	v_sub_f16_e32 v48, v112, v48
	s_delay_alu instid0(VALU_DEP_3) | instskip(SKIP_3) | instid1(VALU_DEP_3)
	v_fmamk_f16 v126, v106, 0xb574, v118
	s_waitcnt lgkmcnt(0)
	v_lshrrev_b32_e32 v1, 16, v0
	v_mul_f16_e64 v105, v166, v0
	v_fmac_f16_e32 v126, 0xb70e, v120
	s_delay_alu instid0(VALU_DEP_3) | instskip(NEXT) | instid1(VALU_DEP_1)
	v_mul_f16_e64 v89, v166, v1
	v_fmac_f16_e32 v89, v56, v0
	s_delay_alu instid0(VALU_DEP_4) | instskip(SKIP_2) | instid1(VALU_DEP_2)
	v_fma_f16 v56, v56, v1, -v105
	v_add_f16_e64 v105, v217, v49
	v_sub_f16_e64 v49, v217, v49
	v_add_f16_e32 v0, v110, v105
	s_delay_alu instid0(VALU_DEP_2) | instskip(SKIP_2) | instid1(VALU_DEP_4)
	v_sub_f16_e32 v100, v49, v100
	v_add_f16_e64 v228, v228, v49
	v_sub_f16_e32 v49, v99, v49
	v_add_f16_e64 v166, v115, v0
	v_add_f16_e32 v0, v103, v109
	v_fma_f16 v204, 0xb574, v100, v122
	s_delay_alu instid0(VALU_DEP_2)
	v_add_f16_e64 v214, v116, v0
	ds_load_2addr_b32 v[0:1], v98 offset1:56
	v_sub_f16_e32 v116, v116, v103
	v_fmac_f16_e64 v204, 0xb70e, v228
	v_sub_f16_e32 v103, v103, v109
	v_fma_f16 v109, v49, 0xbb00, -v122
	v_mul_f16_e32 v49, 0xbb00, v49
	s_delay_alu instid0(VALU_DEP_2) | instskip(NEXT) | instid1(VALU_DEP_2)
	v_fmac_f16_e64 v109, 0xb70e, v228
	v_fma_f16 v49, v100, 0x3574, -v49
	v_fma_f16 v100, v48, 0xbb00, -v118
	v_mul_f16_e32 v48, 0xbb00, v48
	s_delay_alu instid0(VALU_DEP_3) | instskip(NEXT) | instid1(VALU_DEP_3)
	v_fmac_f16_e64 v49, 0xb70e, v228
	v_fmac_f16_e32 v100, 0xb70e, v120
	s_delay_alu instid0(VALU_DEP_3) | instskip(SKIP_3) | instid1(VALU_DEP_3)
	v_fma_f16 v48, v106, 0x3574, -v48
	s_waitcnt lgkmcnt(0)
	v_lshrrev_b32_e32 v217, 16, v0
	v_add_f16_e64 v0, v0, v166
	v_fmac_f16_e32 v48, 0xb70e, v120
	v_lshrrev_b32_e32 v118, 16, v1
	s_delay_alu instid0(VALU_DEP_4) | instskip(NEXT) | instid1(VALU_DEP_4)
	v_add_f16_e64 v217, v217, v214
	v_fma_f16 v166, 0xbcab, v166, v0
	s_delay_alu instid0(VALU_DEP_2) | instskip(SKIP_3) | instid1(VALU_DEP_2)
	v_fma_f16 v214, 0xbcab, v214, v217
	v_pack_b32_f16 v0, v0, v217
	v_sub_f16_e64 v217, v105, v115
	v_sub_f16_e32 v115, v115, v110
	v_mul_f16_e64 v217, 0x3a52, v217
	s_delay_alu instid0(VALU_DEP_2) | instskip(NEXT) | instid1(VALU_DEP_2)
	v_mul_f16_e32 v99, 0x2b26, v115
	v_fma_f16 v230, 0x2b26, v115, v217
	v_sub_f16_e64 v115, v208, v207
	s_delay_alu instid0(VALU_DEP_2) | instskip(SKIP_1) | instid1(VALU_DEP_1)
	v_add_f16_e64 v124, v230, v166
	v_fma_f16 v230, 0x2b26, v116, v226
	v_add_f16_e64 v125, v230, v214
	s_delay_alu instid0(VALU_DEP_3) | instskip(NEXT) | instid1(VALU_DEP_2)
	v_add_f16_e64 v230, v126, v124
	v_sub_f16_e64 v231, v125, v204
	s_delay_alu instid0(VALU_DEP_1)
	v_pack_b32_f16 v209, v230, v231
	ds_load_2addr_b32 v[230:231], v98 offset0:112 offset1:168
	s_waitcnt lgkmcnt(0)
	s_barrier
	buffer_gl0_inv
	ds_store_2addr_b32 v176, v0, v209 offset1:4
	v_sub_f16_e32 v0, v110, v105
	v_mul_f16_e32 v105, 0x2b26, v116
	s_delay_alu instid0(VALU_DEP_2) | instskip(SKIP_1) | instid1(VALU_DEP_3)
	v_fma_f16 v99, v0, 0x39e0, -v99
	v_fma_f16 v0, v0, 0xb9e0, -v217
	;; [unrolled: 1-line block ×4, first 2 shown]
	s_delay_alu instid0(VALU_DEP_4) | instskip(NEXT) | instid1(VALU_DEP_4)
	v_add_f16_e64 v99, v99, v166
	v_add_f16_e64 v0, v0, v166
	s_delay_alu instid0(VALU_DEP_4) | instskip(NEXT) | instid1(VALU_DEP_4)
	v_add_f16_e64 v105, v105, v214
	v_add_f16_e64 v103, v103, v214
	s_delay_alu instid0(VALU_DEP_3) | instskip(SKIP_1) | instid1(VALU_DEP_3)
	v_add_f16_e32 v106, v48, v0
	v_sub_f16_e32 v0, v0, v48
	v_sub_f16_e32 v110, v103, v49
	v_add_f16_e32 v48, v49, v103
	v_add_f16_e32 v112, v109, v105
	v_sub_f16_e64 v103, v180, v215
	s_delay_alu instid0(VALU_DEP_4)
	v_pack_b32_f16 v106, v106, v110
	v_sub_f16_e32 v110, v99, v100
	v_add_f16_e32 v99, v100, v99
	v_sub_f16_e32 v100, v105, v109
	v_pack_b32_f16 v0, v0, v48
	v_add_f16_e64 v48, v204, v125
	v_add_f16_e64 v105, v212, v216
	v_pack_b32_f16 v110, v110, v112
	v_pack_b32_f16 v49, v99, v100
	v_add_f16_e64 v100, v180, v215
	v_add_f16_e64 v109, v181, v205
	;; [unrolled: 1-line block ×3, first 2 shown]
	ds_store_2addr_b32 v176, v106, v110 offset0:8 offset1:12
	ds_store_2addr_b32 v176, v49, v0 offset0:16 offset1:20
	v_sub_f16_e32 v0, v124, v126
	v_add_f16_e64 v49, v213, v219
	v_sub_f16_e64 v106, v212, v216
	v_sub_f16_e64 v110, v205, v181
	;; [unrolled: 1-line block ×3, first 2 shown]
	v_pack_b32_f16 v0, v0, v48
	v_add_f16_e32 v120, v105, v49
	v_sub_f16_e64 v48, v184, v218
	v_sub_f16_e32 v122, v49, v112
	v_sub_f16_e32 v125, v110, v103
	ds_store_b32 v176, v0 offset:96
	v_add_f16_e64 v0, v184, v218
	v_add_f16_e32 v120, v112, v120
	v_sub_f16_e64 v166, v115, v106
	v_sub_f16_e32 v112, v112, v105
	v_add_f16_e32 v124, v110, v103
	v_add_f16_e32 v116, v100, v0
	;; [unrolled: 1-line block ×3, first 2 shown]
	v_sub_f16_e32 v110, v48, v110
	v_add_f16_e32 v126, v115, v106
	v_sub_f16_e32 v115, v99, v115
	v_add_f16_e32 v116, v109, v116
	v_fmamk_f16 v120, v120, 0xbcab, v118
	v_mul_f16_e32 v122, 0x3a52, v122
	v_mul_f16_e32 v125, 0x3846, v125
	v_mul_f16_e64 v166, 0x3846, v166
	v_add_f16_e32 v1, v1, v116
	v_add_f16_e32 v124, v124, v48
	;; [unrolled: 1-line block ×3, first 2 shown]
	v_fma_f16 v180, 0x2b26, v112, v122
	v_fma_f16 v181, 0xb574, v115, v166
	v_fmamk_f16 v116, v116, 0xbcab, v1
	v_pack_b32_f16 v1, v1, v118
	v_sub_f16_e32 v118, v0, v109
	v_sub_f16_e32 v109, v109, v100
	v_fma_f16 v184, 0xb574, v110, v125
	v_add_f16_e64 v180, v180, v120
	v_fmac_f16_e64 v181, 0xb70e, v126
	v_mul_f16_e32 v118, 0x3a52, v118
	v_sub_f16_e32 v48, v103, v48
	v_fmac_f16_e64 v184, 0xb70e, v124
	v_sub_f16_e32 v0, v100, v0
	v_mul_f16_e32 v100, 0x2b26, v112
	v_fma_f16 v176, 0x2b26, v109, v118
	v_fma_f16 v103, v48, 0xbb00, -v125
	v_sub_f16_e64 v205, v180, v184
	v_mul_f16_e32 v48, 0xbb00, v48
	v_lshrrev_b32_e32 v112, 16, v230
	v_add_f16_e64 v176, v176, v116
	v_fmac_f16_e32 v103, 0xb70e, v124
	s_delay_alu instid0(VALU_DEP_4) | instskip(NEXT) | instid1(VALU_DEP_3)
	v_fma_f16 v48, v110, 0x3574, -v48
	v_add_f16_e64 v204, v181, v176
	s_delay_alu instid0(VALU_DEP_2) | instskip(NEXT) | instid1(VALU_DEP_2)
	v_fmac_f16_e32 v48, 0xb70e, v124
	v_pack_b32_f16 v204, v204, v205
	ds_store_2addr_b32 v172, v1, v204 offset1:4
	v_sub_f16_e32 v1, v105, v49
	v_sub_f16_e32 v49, v106, v99
	v_mul_f16_e32 v99, 0x2b26, v109
	s_delay_alu instid0(VALU_DEP_3) | instskip(NEXT) | instid1(VALU_DEP_3)
	v_fma_f16 v100, v1, 0x39e0, -v100
	v_fma_f16 v105, v49, 0xbb00, -v166
	v_mul_f16_e32 v49, 0xbb00, v49
	s_delay_alu instid0(VALU_DEP_4)
	v_fma_f16 v99, v0, 0x39e0, -v99
	v_fma_f16 v0, v0, 0xb9e0, -v118
	;; [unrolled: 1-line block ×3, first 2 shown]
	v_add_f16_e32 v100, v100, v120
	v_fma_f16 v49, v115, 0x3574, -v49
	v_add_f16_e32 v99, v99, v116
	v_add_f16_e32 v0, v0, v116
	v_add_f16_e32 v1, v1, v120
	v_fmac_f16_e32 v105, 0xb70e, v126
	v_fmac_f16_e32 v49, 0xb70e, v126
	v_add_f16_e32 v110, v103, v100
	v_sub_f16_e32 v100, v100, v103
	v_sub_f16_e32 v109, v1, v48
	v_add_f16_e32 v1, v48, v1
	v_add_f16_e32 v106, v49, v0
	v_sub_f16_e32 v0, v0, v49
	v_add_f16_e64 v103, v91, v174
	v_sub_f16_e64 v91, v174, v91
	v_sub_f16_e64 v49, v171, v206
	v_pack_b32_f16 v106, v106, v109
	v_sub_f16_e32 v109, v99, v105
	v_add_f16_e32 v99, v105, v99
	v_pack_b32_f16 v0, v0, v1
	v_add_f16_e64 v1, v184, v180
	v_add_f16_e64 v105, v169, v177
	v_pack_b32_f16 v109, v109, v110
	v_pack_b32_f16 v48, v99, v100
	v_add_f16_e64 v99, v170, v203
	v_sub_f16_e64 v100, v170, v203
	ds_store_2addr_b32 v172, v106, v109 offset0:8 offset1:12
	ds_store_2addr_b32 v172, v48, v0 offset0:16 offset1:20
	v_sub_f16_e64 v0, v176, v181
	v_add_f16_e64 v48, v171, v206
	v_sub_f16_e64 v106, v177, v169
	s_delay_alu instid0(VALU_DEP_3) | instskip(SKIP_1) | instid1(VALU_DEP_4)
	v_pack_b32_f16 v0, v0, v1
	v_sub_f16_e64 v1, v96, v186
	v_add_f16_e32 v110, v99, v48
	s_delay_alu instid0(VALU_DEP_4)
	v_add_f16_e32 v122, v106, v100
	v_sub_f16_e32 v124, v106, v100
	ds_store_b32 v172, v0 offset:96
	v_add_f16_e64 v0, v96, v186
	v_add_f16_e64 v96, v90, v183
	v_sub_f16_e64 v90, v90, v183
	v_add_f16_e32 v110, v105, v110
	v_sub_f16_e32 v116, v48, v105
	v_sub_f16_e32 v105, v105, v99
	v_add_f16_e32 v109, v96, v0
	v_add_f16_e32 v118, v91, v90
	v_sub_f16_e32 v120, v91, v90
	v_add_f16_e32 v112, v112, v110
	v_sub_f16_e32 v91, v1, v91
	v_add_f16_e32 v109, v103, v109
	v_add_f16_e32 v118, v118, v1
	v_mul_f16_e32 v120, 0x3846, v120
	v_sub_f16_e32 v1, v90, v1
	v_fmamk_f16 v110, v110, 0xbcab, v112
	v_add_f16_e64 v115, v230, v109
	v_sub_f16_e32 v106, v49, v106
	v_add_f16_e32 v122, v122, v49
	v_mul_f16_e32 v124, 0x3846, v124
	v_sub_f16_e32 v48, v99, v48
	v_fmamk_f16 v109, v109, 0xbcab, v115
	v_pack_b32_f16 v112, v115, v112
	v_sub_f16_e32 v115, v0, v103
	v_sub_f16_e32 v103, v103, v96
	v_sub_f16_e32 v49, v100, v49
	v_fma_f16 v99, v1, 0xbb00, -v120
	v_mul_f16_e32 v1, 0xbb00, v1
	v_mul_f16_e32 v115, 0x3a52, v115
	v_mul_f16_e32 v116, 0x3a52, v116
	v_fma_f16 v169, 0xb574, v91, v120
	v_sub_f16_e32 v0, v96, v0
	v_mul_f16_e32 v90, 0x2b26, v103
	v_mul_f16_e32 v96, 0x2b26, v105
	v_fma_f16 v1, v91, 0x3574, -v1
	v_fma_f16 v91, v49, 0xbb00, -v124
	v_mul_f16_e32 v49, 0xbb00, v49
	v_fma_f16 v90, v0, 0x39e0, -v90
	v_fma_f16 v0, v0, 0xb9e0, -v115
	;; [unrolled: 1-line block ×5, first 2 shown]
	v_fmac_f16_e32 v1, 0xb70e, v118
	v_add_f16_e32 v0, v0, v109
	v_fmamk_f16 v125, v103, 0x2b26, v115
	v_add_f16_e32 v48, v48, v110
	v_fmac_f16_e32 v49, 0xb70e, v122
	v_add_f16_e32 v90, v90, v109
	v_add_f16_e32 v96, v96, v110
	v_fmac_f16_e32 v99, 0xb70e, v118
	v_fmac_f16_e32 v91, 0xb70e, v122
	v_add_f16_e32 v100, v49, v0
	v_sub_f16_e32 v103, v48, v1
	v_sub_f16_e32 v0, v0, v49
	v_add_f16_e32 v1, v1, v48
	v_fmamk_f16 v126, v105, 0x2b26, v116
	v_add_f16_e32 v105, v99, v96
	v_pack_b32_f16 v100, v100, v103
	v_sub_f16_e32 v103, v90, v91
	v_add_f16_e32 v90, v91, v90
	v_sub_f16_e32 v91, v96, v99
	v_pack_b32_f16 v0, v0, v1
	v_sub_f16_e32 v49, v83, v97
	v_pack_b32_f16 v103, v103, v105
	v_fma_f16 v166, 0xb574, v106, v124
	v_pack_b32_f16 v48, v90, v91
	v_add_f16_e32 v90, v76, v92
	v_sub_f16_e32 v76, v76, v92
	v_add_f16_e32 v92, v81, v84
	v_add_f16_e64 v91, v87, v167
	ds_store_2addr_b32 v53, v48, v0 offset0:16 offset1:20
	v_add_f16_e32 v48, v83, v97
	v_add_f16_e64 v83, v88, v168
	v_sub_f16_e32 v81, v84, v81
	v_add_f16_e32 v84, v85, v86
	v_sub_f16_e32 v85, v86, v85
	v_add_f16_e32 v86, v90, v48
	v_sub_f16_e32 v96, v90, v48
	v_sub_f16_e32 v48, v48, v92
	;; [unrolled: 1-line block ×4, first 2 shown]
	v_add_f16_e32 v86, v92, v86
	v_add_f16_e32 v92, v91, v83
	v_sub_f16_e32 v83, v83, v84
	v_sub_f16_e32 v91, v84, v91
	v_mul_f16_e32 v48, 0x3a52, v48
	v_mul_f16_e32 v105, 0x2b26, v90
	v_sub_f16_e64 v88, v88, v168
	v_sub_f16_e64 v87, v87, v167
	v_add_f16_e32 v84, v84, v92
	v_add_f16_e32 v92, v81, v76
	v_sub_f16_e32 v99, v81, v76
	v_sub_f16_e32 v76, v76, v49
	v_fmamk_f16 v90, v90, 0x2b26, v48
	v_fma_f16 v105, v96, 0x39e0, -v105
	v_fma_f16 v48, v96, 0xb9e0, -v48
	v_mul_f16_e32 v83, 0x3a52, v83
	v_mul_f16_e32 v96, 0x2b26, v91
	ds_store_2addr_b32 v53, v100, v103 offset0:8 offset1:12
	v_sub_f16_e32 v81, v49, v81
	v_add_f16_e32 v49, v92, v49
	v_add_f16_e32 v92, v85, v87
	v_sub_f16_e32 v100, v85, v87
	v_sub_f16_e32 v87, v87, v88
	v_add_f16_e64 v103, v231, v86
	v_fmamk_f16 v91, v91, 0x2b26, v83
	v_fma_f16 v96, v97, 0x39e0, -v96
	v_fma_f16 v83, v97, 0xb9e0, -v83
	v_mul_f16_e32 v97, 0x3846, v99
	v_mul_f16_e32 v99, 0xbb00, v76
	v_sub_f16_e32 v85, v88, v85
	v_add_f16_e32 v88, v92, v88
	v_lshrrev_b32_e32 v92, 16, v231
	v_fma_f16 v76, v76, 0xbb00, -v97
	v_fmamk_f16 v97, v81, 0xb574, v97
	v_fma_f16 v81, v81, 0x3574, -v99
	v_mul_f16_e32 v99, 0x3846, v100
	v_mul_f16_e32 v100, 0xbb00, v87
	v_fmamk_f16 v86, v86, 0xbcab, v103
	v_fmac_f16_e32 v76, 0xb70e, v49
	v_fmac_f16_e32 v97, 0xb70e, v49
	v_fma_f16 v87, v87, 0xbb00, -v99
	v_fmamk_f16 v99, v85, 0xb574, v99
	v_fma_f16 v85, v85, 0x3574, -v100
	v_add_f16_e32 v90, v90, v86
	v_add_f16_e32 v100, v105, v86
	v_add_f16_e32 v48, v48, v86
	v_add_f16_e32 v86, v92, v84
	v_fmac_f16_e32 v87, 0xb70e, v88
	v_fmac_f16_e32 v99, 0xb70e, v88
	;; [unrolled: 1-line block ×4, first 2 shown]
	v_fmamk_f16 v84, v84, 0xbcab, v86
	v_sub_f16_e32 v49, v100, v87
	v_add_f16_e32 v125, v125, v109
	v_add_f16_e32 v88, v85, v48
	v_sub_f16_e32 v48, v48, v85
	v_add_f16_e32 v92, v96, v84
	v_add_f16_e32 v96, v75, v89
	v_sub_f16_e32 v75, v75, v89
	v_add_f16_e32 v89, v79, v56
	v_sub_f16_e32 v56, v79, v56
	v_add_f16_e32 v79, v73, v66
	v_add_f16_e32 v91, v91, v84
	v_sub_f16_e32 v66, v73, v66
	v_add_f16_e32 v73, v78, v55
	v_sub_f16_e32 v55, v78, v55
	;; [unrolled: 2-line block ×4, first 2 shown]
	v_add_f16_e32 v82, v79, v96
	v_add_f16_e32 v83, v83, v84
	;; [unrolled: 1-line block ×4, first 2 shown]
	v_sub_f16_e32 v76, v92, v76
	v_sub_f16_e32 v92, v91, v97
	v_add_f16_e32 v91, v97, v91
	v_sub_f16_e32 v97, v79, v96
	v_sub_f16_e32 v96, v96, v78
	;; [unrolled: 1-line block ×3, first 2 shown]
	v_add_f16_e32 v78, v78, v82
	v_add_f16_e32 v82, v73, v89
	v_sub_f16_e32 v85, v83, v81
	v_add_f16_e32 v81, v81, v83
	v_add_f16_e32 v83, v99, v90
	v_sub_f16_e32 v90, v90, v99
	v_sub_f16_e32 v99, v73, v89
	;; [unrolled: 1-line block ×4, first 2 shown]
	v_add_f16_e32 v80, v80, v82
	v_add_f16_e32 v82, v74, v66
	v_mul_f16_e32 v96, 0x3a52, v96
	v_mul_f16_e32 v106, 0x2b26, v79
	v_sub_f16_e32 v100, v74, v66
	v_sub_f16_e32 v74, v75, v74
	;; [unrolled: 1-line block ×3, first 2 shown]
	v_add_f16_e32 v75, v82, v75
	v_add_f16_e32 v82, v77, v55
	v_fmamk_f16 v79, v79, 0x2b26, v96
	v_fma_f16 v106, v97, 0x39e0, -v106
	v_fma_f16 v96, v97, 0xb9e0, -v96
	v_mul_f16_e32 v89, 0x3a52, v89
	v_mul_f16_e32 v97, 0x2b26, v73
	v_sub_f16_e32 v105, v77, v55
	v_sub_f16_e32 v77, v56, v77
	v_sub_f16_e32 v55, v55, v56
	v_add_f16_e32 v56, v82, v56
	v_lshrrev_b32_e32 v82, 16, v65
	v_fmamk_f16 v73, v73, 0x2b26, v89
	v_fma_f16 v97, v99, 0x39e0, -v97
	v_fma_f16 v89, v99, 0xb9e0, -v89
	v_mul_f16_e32 v99, 0x3846, v100
	v_mul_f16_e32 v100, 0xbb00, v66
	v_add_f16_e32 v65, v65, v78
	v_add_f16_e32 v82, v82, v80
	;; [unrolled: 1-line block ×3, first 2 shown]
	v_fma_f16 v66, v66, 0xbb00, -v99
	v_fmamk_f16 v99, v74, 0xb574, v99
	v_fma_f16 v74, v74, 0x3574, -v100
	v_mul_f16_e32 v100, 0x3846, v105
	v_mul_f16_e32 v105, 0xbb00, v55
	v_fmac_f16_e64 v166, 0xb70e, v122
	v_fmac_f16_e64 v169, 0xb70e, v118
	v_fmamk_f16 v78, v78, 0xbcab, v65
	v_fma_f16 v55, v55, 0xbb00, -v100
	v_fmamk_f16 v100, v77, 0xb574, v100
	v_fma_f16 v77, v77, 0x3574, -v105
	v_fmamk_f16 v80, v80, 0xbcab, v82
	v_add_f16_e64 v170, v166, v125
	v_sub_f16_e64 v171, v126, v169
	v_sub_f16_e64 v0, v125, v166
	v_add_f16_e64 v1, v169, v126
	v_add_f16_e32 v79, v79, v78
	v_add_f16_e32 v105, v106, v78
	;; [unrolled: 1-line block ×6, first 2 shown]
	v_fmac_f16_e32 v100, 0xb70e, v56
	v_fmac_f16_e32 v77, 0xb70e, v56
	;; [unrolled: 1-line block ×6, first 2 shown]
	v_pack_b32_f16 v170, v170, v171
	v_pack_b32_f16 v0, v0, v1
	v_add_f16_e32 v75, v66, v96
	v_sub_f16_e32 v66, v96, v66
	v_add_f16_e32 v89, v77, v78
	v_sub_f16_e32 v77, v78, v77
	v_sub_f16_e32 v78, v80, v74
	v_add_f16_e32 v74, v74, v80
	v_add_f16_e32 v80, v100, v79
	v_sub_f16_e32 v96, v79, v100
	v_pack_b32_f16 v1, v103, v86
	v_pack_b32_f16 v79, v83, v92
	;; [unrolled: 1-line block ×3, first 2 shown]
	v_sub_f16_e32 v81, v73, v99
	v_sub_f16_e32 v56, v105, v55
	v_pack_b32_f16 v83, v88, v85
	v_pack_b32_f16 v49, v49, v87
	v_add_f16_e32 v55, v55, v105
	v_pack_b32_f16 v76, v84, v76
	v_add_f16_e32 v97, v99, v73
	ds_store_2addr_b32 v53, v112, v170 offset1:4
	ds_store_b32 v53, v0 offset:96
	ds_store_2addr_b32 v164, v1, v79 offset1:4
	ds_store_2addr_b32 v164, v83, v49 offset0:8 offset1:12
	ds_store_2addr_b32 v164, v76, v48 offset0:16 offset1:20
	v_pack_b32_f16 v0, v90, v91
	v_pack_b32_f16 v1, v65, v82
	;; [unrolled: 1-line block ×8, first 2 shown]
	ds_store_b32 v164, v0 offset:96
	ds_store_2addr_b32 v165, v1, v48 offset1:4
	ds_store_2addr_b32 v165, v49, v53 offset0:8 offset1:12
	ds_store_2addr_b32 v165, v55, v56 offset0:16 offset1:20
	ds_store_b32 v165, v65 offset:96
	v_add_nc_u32_e32 v48, 0x1600, v98
	s_waitcnt lgkmcnt(0)
	s_barrier
	buffer_gl0_inv
	ds_load_2addr_b32 v[91:92], v98 offset1:56
	ds_load_2addr_b32 v[0:1], v70 offset0:128 offset1:212
	ds_load_2addr_b32 v[89:90], v71 offset0:12 offset1:68
	;; [unrolled: 1-line block ×16, first 2 shown]
	s_and_saveexec_b32 s1, s0
	s_cbranch_execz .LBB0_21
; %bb.20:
	ds_load_b32 v96, v98 offset:3808
	ds_load_b32 v93, v98 offset:7728
	s_waitcnt lgkmcnt(1)
	v_lshrrev_b32_e32 v97, 16, v96
	s_waitcnt lgkmcnt(0)
	v_lshrrev_b32_e32 v94, 16, v93
.LBB0_21:
	s_or_b32 exec_lo, exec_lo, s1
	s_waitcnt lgkmcnt(15)
	v_lshrrev_b32_e32 v48, 16, v1
	v_mul_f16_e64 v49, v221, v1
	s_waitcnt lgkmcnt(0)
	s_barrier
	buffer_gl0_inv
	v_mul_f16_e64 v53, v221, v48
	v_fma_f16 v48, v202, v48, -v49
	s_delay_alu instid0(VALU_DEP_2) | instskip(SKIP_1) | instid1(VALU_DEP_2)
	v_fmac_f16_e64 v53, v202, v1
	v_lshrrev_b32_e32 v1, 16, v91
	v_sub_f16_e32 v49, v91, v53
	s_delay_alu instid0(VALU_DEP_2) | instskip(NEXT) | instid1(VALU_DEP_1)
	v_sub_f16_e32 v48, v1, v48
	v_fma_f16 v1, v1, 2.0, -v48
	s_delay_alu instid0(VALU_DEP_3) | instskip(SKIP_2) | instid1(VALU_DEP_2)
	v_pack_b32_f16 v48, v49, v48
	v_fma_f16 v49, v91, 2.0, -v49
	v_lshrrev_b32_e32 v91, 16, v0
	v_pack_b32_f16 v1, v49, v1
	scratch_load_b32 v49, off, off offset:140 ; 4-byte Folded Reload
	s_waitcnt vmcnt(0)
	ds_store_2addr_b32 v49, v1, v48 offset1:28
	v_lshrrev_b32_e32 v1, 16, v89
	v_lshrrev_b32_e32 v49, 16, v201
	s_delay_alu instid0(VALU_DEP_1) | instskip(NEXT) | instid1(VALU_DEP_3)
	v_mul_f16_e32 v48, v49, v89
	v_mul_f16_e32 v49, v49, v1
	s_delay_alu instid0(VALU_DEP_2) | instskip(NEXT) | instid1(VALU_DEP_2)
	v_fma_f16 v1, v201, v1, -v48
	v_fmac_f16_e64 v49, v201, v89
	v_lshrrev_b32_e32 v89, 16, v2
	s_delay_alu instid0(VALU_DEP_2) | instskip(SKIP_1) | instid1(VALU_DEP_2)
	v_sub_f16_e32 v48, v92, v49
	v_lshrrev_b32_e32 v49, 16, v92
	v_fma_f16 v53, v92, 2.0, -v48
	s_delay_alu instid0(VALU_DEP_2) | instskip(NEXT) | instid1(VALU_DEP_1)
	v_sub_f16_e32 v1, v49, v1
	v_fma_f16 v49, v49, 2.0, -v1
	v_pack_b32_f16 v1, v48, v1
	s_delay_alu instid0(VALU_DEP_2)
	v_pack_b32_f16 v48, v53, v49
	scratch_load_b32 v49, off, off offset:144 ; 4-byte Folded Reload
	s_waitcnt vmcnt(0)
	ds_store_2addr_b32 v49, v48, v1 offset1:28
	v_lshrrev_b32_e32 v1, 16, v90
	v_mul_f16_e64 v49, v211, v90
	s_delay_alu instid0(VALU_DEP_2) | instskip(NEXT) | instid1(VALU_DEP_2)
	v_mul_f16_e64 v48, v211, v1
	v_fma_f16 v1, v200, v1, -v49
	v_lshrrev_b32_e32 v49, 16, v87
	s_delay_alu instid0(VALU_DEP_3) | instskip(SKIP_1) | instid1(VALU_DEP_3)
	v_fmac_f16_e64 v48, v200, v90
	v_lshrrev_b32_e32 v90, 16, v3
	v_sub_f16_e32 v1, v49, v1
	s_delay_alu instid0(VALU_DEP_3) | instskip(NEXT) | instid1(VALU_DEP_2)
	v_sub_f16_e32 v48, v87, v48
	v_fma_f16 v49, v49, 2.0, -v1
	s_delay_alu instid0(VALU_DEP_2)
	v_fma_f16 v53, v87, 2.0, -v48
	v_pack_b32_f16 v1, v48, v1
	scratch_load_b32 v48, off, off offset:160 ; 4-byte Folded Reload
	v_lshrrev_b32_e32 v87, 16, v55
	v_pack_b32_f16 v49, v53, v49
	s_waitcnt vmcnt(0)
	ds_store_2addr_b32 v48, v49, v1 offset1:28
	v_lshrrev_b32_e32 v1, 16, v85
	v_lshrrev_b32_e32 v49, 16, v199
	s_delay_alu instid0(VALU_DEP_1) | instskip(NEXT) | instid1(VALU_DEP_3)
	v_mul_f16_e32 v48, v49, v85
	v_mul_f16_e32 v49, v49, v1
	s_delay_alu instid0(VALU_DEP_2) | instskip(NEXT) | instid1(VALU_DEP_2)
	v_fma_f16 v1, v199, v1, -v48
	v_fmac_f16_e64 v49, v199, v85
	s_delay_alu instid0(VALU_DEP_1) | instskip(SKIP_1) | instid1(VALU_DEP_2)
	v_sub_f16_e32 v48, v88, v49
	v_lshrrev_b32_e32 v49, 16, v88
	v_fma_f16 v53, v88, 2.0, -v48
	s_delay_alu instid0(VALU_DEP_2) | instskip(SKIP_1) | instid1(VALU_DEP_2)
	v_sub_f16_e32 v1, v49, v1
	v_lshrrev_b32_e32 v88, 16, v56
	v_fma_f16 v49, v49, 2.0, -v1
	v_pack_b32_f16 v1, v48, v1
	scratch_load_b32 v48, off, off offset:156 ; 4-byte Folded Reload
	v_pack_b32_f16 v49, v53, v49
	s_waitcnt vmcnt(0)
	ds_store_2addr_b32 v48, v49, v1 offset1:28
	v_lshrrev_b32_e32 v1, 16, v86
	v_mul_f16_e64 v49, v210, v86
	s_delay_alu instid0(VALU_DEP_2) | instskip(NEXT) | instid1(VALU_DEP_2)
	v_mul_f16_e64 v48, v210, v1
	v_fma_f16 v1, v197, v1, -v49
	v_lshrrev_b32_e32 v49, 16, v83
	s_delay_alu instid0(VALU_DEP_3) | instskip(SKIP_1) | instid1(VALU_DEP_3)
	v_fmac_f16_e64 v48, v197, v86
	v_mul_f16_e64 v86, v239, v70
	v_sub_f16_e32 v1, v49, v1
	s_delay_alu instid0(VALU_DEP_3) | instskip(NEXT) | instid1(VALU_DEP_2)
	v_sub_f16_e32 v48, v83, v48
	v_fma_f16 v49, v49, 2.0, -v1
	s_delay_alu instid0(VALU_DEP_2) | instskip(SKIP_4) | instid1(VALU_DEP_2)
	v_fma_f16 v53, v83, 2.0, -v48
	v_pack_b32_f16 v1, v48, v1
	scratch_load_b32 v48, off, off offset:164 ; 4-byte Folded Reload
	v_lshrrev_b32_e32 v83, 16, v70
	v_pack_b32_f16 v49, v53, v49
	v_mul_f16_e64 v85, v239, v83
	s_delay_alu instid0(VALU_DEP_1) | instskip(NEXT) | instid1(VALU_DEP_1)
	v_fmac_f16_e64 v85, v185, v70
	v_sub_f16_e32 v85, v0, v85
	s_delay_alu instid0(VALU_DEP_1) | instskip(SKIP_4) | instid1(VALU_DEP_2)
	v_fma_f16 v0, v0, 2.0, -v85
	s_waitcnt vmcnt(0)
	ds_store_2addr_b32 v48, v49, v1 offset1:28
	v_lshrrev_b32_e32 v1, 16, v81
	v_mul_f16_e64 v48, v220, v81
	v_mul_f16_e64 v49, v220, v1
	s_delay_alu instid0(VALU_DEP_2) | instskip(NEXT) | instid1(VALU_DEP_2)
	v_fma_f16 v1, v198, v1, -v48
	v_fmac_f16_e64 v49, v198, v81
	v_lshrrev_b32_e32 v81, 16, v72
	s_delay_alu instid0(VALU_DEP_2) | instskip(SKIP_1) | instid1(VALU_DEP_2)
	v_sub_f16_e32 v48, v84, v49
	v_lshrrev_b32_e32 v49, 16, v84
	v_fma_f16 v53, v84, 2.0, -v48
	s_delay_alu instid0(VALU_DEP_2) | instskip(NEXT) | instid1(VALU_DEP_1)
	v_sub_f16_e32 v1, v49, v1
	v_fma_f16 v49, v49, 2.0, -v1
	v_pack_b32_f16 v1, v48, v1
	scratch_load_b32 v48, off, off offset:176 ; 4-byte Folded Reload
	v_pack_b32_f16 v49, v53, v49
	s_waitcnt vmcnt(0)
	ds_store_2addr_b32 v48, v49, v1 offset1:28
	v_lshrrev_b32_e32 v1, 16, v82
	v_mul_f16_e64 v49, v225, v82
	s_delay_alu instid0(VALU_DEP_2) | instskip(NEXT) | instid1(VALU_DEP_2)
	v_mul_f16_e64 v48, v225, v1
	v_fma_f16 v1, v194, v1, -v49
	v_lshrrev_b32_e32 v49, 16, v79
	s_delay_alu instid0(VALU_DEP_3) | instskip(NEXT) | instid1(VALU_DEP_2)
	v_fmac_f16_e64 v48, v194, v82
	v_sub_f16_e32 v1, v49, v1
	s_delay_alu instid0(VALU_DEP_2) | instskip(NEXT) | instid1(VALU_DEP_2)
	v_sub_f16_e32 v48, v79, v48
	v_fma_f16 v49, v49, 2.0, -v1
	s_delay_alu instid0(VALU_DEP_2)
	v_fma_f16 v53, v79, 2.0, -v48
	v_pack_b32_f16 v1, v48, v1
	scratch_load_b32 v48, off, off offset:184 ; 4-byte Folded Reload
	v_pack_b32_f16 v49, v53, v49
	s_waitcnt vmcnt(0)
	ds_store_2addr_b32 v48, v49, v1 offset1:28
	v_lshrrev_b32_e32 v1, 16, v77
	v_mul_f16_e64 v48, v223, v77
	s_delay_alu instid0(VALU_DEP_2) | instskip(NEXT) | instid1(VALU_DEP_2)
	v_mul_f16_e64 v49, v223, v1
	v_fma_f16 v1, v190, v1, -v48
	s_delay_alu instid0(VALU_DEP_2) | instskip(NEXT) | instid1(VALU_DEP_1)
	v_fmac_f16_e64 v49, v190, v77
	v_sub_f16_e32 v48, v80, v49
	v_lshrrev_b32_e32 v49, 16, v80
	s_delay_alu instid0(VALU_DEP_2) | instskip(NEXT) | instid1(VALU_DEP_2)
	v_fma_f16 v53, v80, 2.0, -v48
	v_sub_f16_e32 v1, v49, v1
	v_mul_f16_e64 v80, v232, v74
	s_delay_alu instid0(VALU_DEP_2)
	v_fma_f16 v49, v49, 2.0, -v1
	v_pack_b32_f16 v1, v48, v1
	scratch_load_b32 v48, off, off offset:188 ; 4-byte Folded Reload
	v_pack_b32_f16 v49, v53, v49
	v_mul_f16_e64 v53, v224, v75
	s_waitcnt vmcnt(0)
	ds_store_2addr_b32 v48, v49, v1 offset1:28
	v_lshrrev_b32_e32 v1, 16, v78
	v_mul_f16_e64 v49, v222, v78
	s_delay_alu instid0(VALU_DEP_2) | instskip(NEXT) | instid1(VALU_DEP_2)
	v_mul_f16_e64 v48, v222, v1
	v_fma_f16 v1, v196, v1, -v49
	v_lshrrev_b32_e32 v49, 16, v75
	s_delay_alu instid0(VALU_DEP_3) | instskip(SKIP_1) | instid1(VALU_DEP_3)
	v_fmac_f16_e64 v48, v196, v78
	v_mul_f16_e64 v78, v227, v76
	v_mul_f16_e64 v77, v224, v49
	v_fma_f16 v49, v195, v49, -v53
	v_lshrrev_b32_e32 v53, 16, v76
	v_sub_f16_e32 v48, v67, v48
	s_delay_alu instid0(VALU_DEP_4) | instskip(NEXT) | instid1(VALU_DEP_3)
	v_fmac_f16_e64 v77, v195, v75
	v_mul_f16_e64 v75, v227, v53
	v_fma_f16 v53, v193, v53, -v78
	v_mul_f16_e64 v78, v229, v73
	s_delay_alu instid0(VALU_DEP_4) | instskip(SKIP_4) | instid1(VALU_DEP_4)
	v_sub_f16_e32 v70, v68, v77
	v_lshrrev_b32_e32 v77, 16, v67
	v_fmac_f16_e64 v75, v193, v76
	v_lshrrev_b32_e32 v76, 16, v73
	v_fma_f16 v67, v67, 2.0, -v48
	v_sub_f16_e32 v1, v77, v1
	s_delay_alu instid0(VALU_DEP_4) | instskip(NEXT) | instid1(VALU_DEP_4)
	v_sub_f16_e32 v75, v65, v75
	v_mul_f16_e64 v79, v229, v76
	v_fma_f16 v76, v192, v76, -v78
	s_delay_alu instid0(VALU_DEP_4) | instskip(SKIP_1) | instid1(VALU_DEP_4)
	v_fma_f16 v77, v77, 2.0, -v1
	v_pack_b32_f16 v1, v48, v1
	v_fmac_f16_e64 v79, v192, v73
	v_lshrrev_b32_e32 v73, 16, v74
	s_delay_alu instid0(VALU_DEP_4) | instskip(NEXT) | instid1(VALU_DEP_3)
	v_pack_b32_f16 v67, v67, v77
	v_sub_f16_e32 v79, v66, v79
	s_delay_alu instid0(VALU_DEP_3) | instskip(SKIP_2) | instid1(VALU_DEP_3)
	v_mul_f16_e64 v78, v232, v73
	v_fma_f16 v73, v191, v73, -v80
	v_mul_f16_e64 v80, v233, v71
	v_fmac_f16_e64 v78, v191, v74
	v_lshrrev_b32_e32 v74, 16, v71
	s_delay_alu instid0(VALU_DEP_2) | instskip(NEXT) | instid1(VALU_DEP_2)
	v_sub_f16_e32 v78, v55, v78
	v_mul_f16_e64 v82, v233, v74
	v_fma_f16 v74, v189, v74, -v80
	v_mul_f16_e64 v80, v237, v81
	s_delay_alu instid0(VALU_DEP_4) | instskip(NEXT) | instid1(VALU_DEP_4)
	v_fma_f16 v55, v55, 2.0, -v78
	v_fmac_f16_e64 v82, v189, v71
	v_mul_f16_e64 v71, v237, v72
	s_delay_alu instid0(VALU_DEP_4) | instskip(SKIP_1) | instid1(VALU_DEP_4)
	v_fmac_f16_e64 v80, v188, v72
	v_lshrrev_b32_e32 v72, 16, v69
	v_sub_f16_e32 v82, v56, v82
	s_delay_alu instid0(VALU_DEP_4) | instskip(SKIP_1) | instid1(VALU_DEP_4)
	v_fma_f16 v71, v188, v81, -v71
	v_mul_f16_e64 v81, v238, v69
	v_mul_f16_e64 v84, v238, v72
	v_sub_f16_e32 v80, v2, v80
	v_fma_f16 v56, v56, 2.0, -v82
	v_sub_f16_e32 v71, v89, v71
	v_fma_f16 v72, v187, v72, -v81
	v_fmac_f16_e64 v84, v187, v69
	v_fma_f16 v69, v185, v83, -v86
	v_lshrrev_b32_e32 v81, 16, v68
	v_lshrrev_b32_e32 v83, 16, v65
	v_fma_f16 v65, v65, 2.0, -v75
	v_fma_f16 v68, v68, 2.0, -v70
	v_lshrrev_b32_e32 v86, 16, v66
	v_sub_f16_e32 v49, v81, v49
	v_sub_f16_e32 v53, v83, v53
	v_fma_f16 v66, v66, 2.0, -v79
	v_fma_f16 v2, v2, 2.0, -v80
	v_sub_f16_e32 v76, v86, v76
	v_fma_f16 v77, v81, 2.0, -v49
	v_fma_f16 v81, v83, 2.0, -v53
	v_pack_b32_f16 v49, v70, v49
	v_pack_b32_f16 v53, v75, v53
	v_fma_f16 v48, v86, 2.0, -v76
	v_pack_b32_f16 v68, v68, v77
	v_pack_b32_f16 v65, v65, v81
	scratch_load_b32 v81, off, off offset:148 ; 4-byte Folded Reload
	v_sub_f16_e32 v70, v87, v73
	v_pack_b32_f16 v48, v66, v48
	v_pack_b32_f16 v66, v79, v76
	v_sub_f16_e32 v73, v88, v74
	v_fma_f16 v76, v89, 2.0, -v71
	v_fma_f16 v74, v87, 2.0, -v70
	v_sub_f16_e32 v84, v3, v84
	v_sub_f16_e32 v72, v90, v72
	v_fma_f16 v75, v88, 2.0, -v73
	v_pack_b32_f16 v2, v2, v76
	v_sub_f16_e32 v69, v91, v69
	v_fma_f16 v3, v3, 2.0, -v84
	v_fma_f16 v77, v90, 2.0, -v72
	s_delay_alu instid0(VALU_DEP_3) | instskip(NEXT) | instid1(VALU_DEP_2)
	v_fma_f16 v79, v91, 2.0, -v69
	v_pack_b32_f16 v3, v3, v77
	s_delay_alu instid0(VALU_DEP_2)
	v_pack_b32_f16 v0, v0, v79
	s_waitcnt vmcnt(0)
	ds_store_2addr_b32 v81, v67, v1 offset1:28
	scratch_load_b32 v1, off, off offset:152 ; 4-byte Folded Reload
	s_waitcnt vmcnt(0)
	ds_store_2addr_b32 v1, v68, v49 offset1:28
	scratch_load_b32 v1, off, off offset:168 ; 4-byte Folded Reload
	v_pack_b32_f16 v49, v56, v75
	v_pack_b32_f16 v56, v84, v72
	s_waitcnt vmcnt(0)
	ds_store_2addr_b32 v1, v65, v53 offset1:28
	scratch_load_b32 v1, off, off offset:172 ; 4-byte Folded Reload
	v_pack_b32_f16 v53, v82, v73
	v_pack_b32_f16 v65, v85, v69
	;; [unrolled: 5-line block ×3, first 2 shown]
	v_pack_b32_f16 v55, v80, v71
	s_waitcnt vmcnt(0)
	ds_store_2addr_b32 v66, v1, v48 offset1:28
	scratch_load_b32 v1, off, off offset:192 ; 4-byte Folded Reload
	s_waitcnt vmcnt(0)
	ds_store_2addr_b32 v1, v49, v53 offset1:28
	scratch_load_b32 v1, off, off offset:196 ; 4-byte Folded Reload
	;; [unrolled: 3-line block ×4, first 2 shown]
	s_waitcnt vmcnt(0)
	ds_store_2addr_b32 v1, v0, v65 offset1:28
	s_and_saveexec_b32 s1, s0
	s_cbranch_execz .LBB0_23
; %bb.22:
	v_lshrrev_b32_e32 v1, 16, v178
	s_delay_alu instid0(VALU_DEP_1) | instskip(SKIP_1) | instid1(VALU_DEP_2)
	v_mul_f16_e32 v0, v1, v94
	v_mul_f16_e32 v1, v1, v93
	v_fmac_f16_e64 v0, v178, v93
	s_delay_alu instid0(VALU_DEP_2) | instskip(NEXT) | instid1(VALU_DEP_2)
	v_fma_f16 v1, v178, v94, -v1
	v_sub_f16_e32 v0, v96, v0
	s_delay_alu instid0(VALU_DEP_2) | instskip(NEXT) | instid1(VALU_DEP_2)
	v_sub_f16_e32 v1, v97, v1
	v_fma_f16 v2, v96, 2.0, -v0
	s_delay_alu instid0(VALU_DEP_2) | instskip(SKIP_1) | instid1(VALU_DEP_2)
	v_fma_f16 v3, v97, 2.0, -v1
	v_pack_b32_f16 v0, v0, v1
	v_pack_b32_f16 v1, v2, v3
	scratch_load_b32 v2, off, off offset:136 ; 4-byte Folded Reload
	s_waitcnt vmcnt(0)
	v_add_nc_u32_e32 v2, 0x1c00, v2
	ds_store_2addr_b32 v2, v1, v0 offset0:112 offset1:140
.LBB0_23:
	s_or_b32 exec_lo, exec_lo, s1
	v_add_nc_u32_e32 v66, 0x800, v98
	s_waitcnt lgkmcnt(0)
	s_barrier
	buffer_gl0_inv
	v_add_nc_u32_e32 v56, 0x1000, v98
	ds_load_2addr_b32 v[0:1], v66 offset0:48 offset1:104
	v_add_nc_u32_e32 v65, 0x200, v98
	v_add_nc_u32_e32 v55, 0x400, v98
	s_mul_i32 s15, s8, 0xffffe9e8
	s_waitcnt lgkmcnt(0)
	v_lshrrev_b32_e32 v2, 16, v0
	v_lshrrev_b32_e32 v48, 16, v1
	v_mul_f16_e64 v3, v246, v0
	v_mul_f16_e64 v53, v246, v1
	s_delay_alu instid0(VALU_DEP_4) | instskip(NEXT) | instid1(VALU_DEP_4)
	v_mul_f16_e64 v49, v246, v2
	v_mul_f16_e64 v70, v246, v48
	s_delay_alu instid0(VALU_DEP_4) | instskip(NEXT) | instid1(VALU_DEP_4)
	v_fma_f16 v96, v5, v2, -v3
	v_fma_f16 v82, v5, v48, -v53
	v_add_nc_u32_e32 v53, 0xc00, v98
	v_fmac_f16_e32 v49, v5, v0
	v_fmac_f16_e32 v70, v5, v1
	ds_load_2addr_b32 v[0:1], v56 offset0:96 offset1:152
	ds_load_2addr_b32 v[86:87], v53 offset0:16 offset1:72
	s_waitcnt lgkmcnt(1)
	v_lshrrev_b32_e32 v67, 16, v0
	v_lshrrev_b32_e32 v69, 16, v1
	v_mul_f16_e64 v68, v249, v0
	v_mul_f16_e64 v71, v249, v1
	s_waitcnt lgkmcnt(0)
	v_lshrrev_b32_e32 v5, 16, v87
	v_mul_f16_e64 v95, v249, v67
	v_mul_f16_e64 v73, v249, v69
	v_fma_f16 v100, v7, v67, -v68
	ds_load_2addr_b32 v[67:68], v53 offset0:128 offset1:184
	v_fma_f16 v85, v7, v69, -v71
	v_fmac_f16_e32 v95, v7, v0
	v_fmac_f16_e32 v73, v7, v1
	ds_load_2addr_b32 v[0:1], v65 offset0:96 offset1:152
	v_mul_f16_e64 v48, v244, v87
	v_mul_f16_e64 v103, v244, v5
	s_delay_alu instid0(VALU_DEP_2) | instskip(NEXT) | instid1(VALU_DEP_2)
	v_fma_f16 v48, v6, v5, -v48
	v_fmac_f16_e32 v103, v6, v87
	s_waitcnt lgkmcnt(1)
	v_lshrrev_b32_e32 v5, 16, v67
	s_waitcnt lgkmcnt(0)
	v_lshrrev_b32_e32 v2, 16, v1
	v_mul_f16_e64 v3, v242, v1
	s_delay_alu instid0(VALU_DEP_3) | instskip(NEXT) | instid1(VALU_DEP_3)
	v_mul_f16_e64 v83, v244, v5
	v_mul_f16_e64 v99, v242, v2
	s_delay_alu instid0(VALU_DEP_3)
	v_fma_f16 v97, v4, v2, -v3
	ds_load_2addr_b32 v[2:3], v55 offset0:80 offset1:136
	v_fmac_f16_e32 v83, v6, v67
	v_fmac_f16_e32 v99, v4, v1
	s_waitcnt lgkmcnt(0)
	v_lshrrev_b32_e32 v72, 16, v2
	v_lshrrev_b32_e32 v1, 16, v3
	v_mul_f16_e64 v74, v242, v2
	s_delay_alu instid0(VALU_DEP_3) | instskip(NEXT) | instid1(VALU_DEP_3)
	v_mul_f16_e64 v80, v242, v72
	v_mul_f16_e32 v71, v102, v1
	s_delay_alu instid0(VALU_DEP_3) | instskip(SKIP_1) | instid1(VALU_DEP_4)
	v_fma_f16 v81, v4, v72, -v74
	v_mul_f16_e64 v72, v244, v67
	v_fmac_f16_e32 v80, v4, v2
	v_mul_f16_e32 v2, v102, v3
	v_fmac_f16_e32 v71, v24, v3
	s_delay_alu instid0(VALU_DEP_4)
	v_fma_f16 v84, v6, v5, -v72
	v_lshrrev_b32_e32 v4, 16, v68
	v_mul_f16_e32 v5, v101, v68
	v_fma_f16 v75, v24, v1, -v2
	ds_load_2addr_b32 v[2:3], v66 offset0:160 offset1:216
	v_mul_f16_e32 v72, v101, v4
	v_fma_f16 v74, v26, v4, -v5
	s_delay_alu instid0(VALU_DEP_2) | instskip(SKIP_3) | instid1(VALU_DEP_2)
	v_fmac_f16_e32 v72, v26, v68
	s_waitcnt lgkmcnt(0)
	v_lshrrev_b32_e32 v1, 16, v2
	v_mul_f16_e32 v6, v104, v2
	v_mul_f16_e32 v77, v104, v1
	s_delay_alu instid0(VALU_DEP_2) | instskip(SKIP_1) | instid1(VALU_DEP_3)
	v_fma_f16 v76, v25, v1, -v6
	v_add_nc_u32_e32 v1, 0x1200, v98
	v_fmac_f16_e32 v77, v25, v2
	v_lshrrev_b32_e32 v2, 16, v3
	ds_load_2addr_b32 v[4:5], v1 offset0:80 offset1:136
	v_mul_f16_e32 v24, v113, v2
	s_delay_alu instid0(VALU_DEP_1)
	v_fmac_f16_e32 v24, v21, v3
	s_waitcnt lgkmcnt(0)
	v_lshrrev_b32_e32 v6, 16, v4
	v_lshrrev_b32_e32 v87, 16, v5
	v_mul_f16_e32 v7, v107, v4
	v_mul_f16_e32 v88, v108, v5
	s_delay_alu instid0(VALU_DEP_4) | instskip(NEXT) | instid1(VALU_DEP_4)
	v_mul_f16_e32 v78, v107, v6
	v_mul_f16_e32 v25, v108, v87
	s_delay_alu instid0(VALU_DEP_4) | instskip(SKIP_1) | instid1(VALU_DEP_4)
	v_fma_f16 v79, v27, v6, -v7
	v_mul_f16_e32 v6, v113, v3
	v_fmac_f16_e32 v78, v27, v4
	s_delay_alu instid0(VALU_DEP_4)
	v_fmac_f16_e32 v25, v23, v5
	ds_load_2addr_b32 v[4:5], v55 offset0:192 offset1:248
	v_fma_f16 v26, v21, v2, -v6
	v_fma_f16 v23, v23, v87, -v88
	s_waitcnt lgkmcnt(0)
	v_lshrrev_b32_e32 v3, 16, v4
	v_mul_f16_e32 v7, v111, v4
	s_delay_alu instid0(VALU_DEP_2) | instskip(NEXT) | instid1(VALU_DEP_2)
	v_mul_f16_e32 v69, v111, v3
	v_fma_f16 v67, v20, v3, -v7
	v_add_nc_u32_e32 v3, 0xe00, v98
	s_delay_alu instid0(VALU_DEP_3)
	v_fmac_f16_e32 v69, v20, v4
	v_mul_f16_e32 v20, v127, v5
	ds_load_2addr_b32 v[6:7], v3 offset0:112 offset1:168
	s_waitcnt lgkmcnt(0)
	v_lshrrev_b32_e32 v2, 16, v6
	v_mul_f16_e64 v21, v182, v6
	v_mul_f16_e32 v87, v121, v7
	s_delay_alu instid0(VALU_DEP_3) | instskip(NEXT) | instid1(VALU_DEP_3)
	v_mul_f16_e64 v68, v182, v2
	v_fma_f16 v27, v22, v2, -v21
	v_lshrrev_b32_e32 v21, 16, v86
	s_delay_alu instid0(VALU_DEP_3) | instskip(SKIP_1) | instid1(VALU_DEP_3)
	v_fmac_f16_e32 v68, v22, v6
	v_lshrrev_b32_e32 v6, 16, v5
	v_mul_f16_e32 v4, v123, v21
	v_mul_f16_e32 v22, v123, v86
	s_delay_alu instid0(VALU_DEP_3) | instskip(NEXT) | instid1(VALU_DEP_3)
	v_mul_f16_e32 v2, v127, v6
	v_fmac_f16_e32 v4, v17, v86
	v_lshrrev_b32_e32 v86, 16, v7
	v_fma_f16 v20, v16, v6, -v20
	s_delay_alu instid0(VALU_DEP_4) | instskip(NEXT) | instid1(VALU_DEP_3)
	v_fmac_f16_e32 v2, v16, v5
	v_mul_f16_e32 v5, v121, v86
	v_fma_f16 v6, v18, v86, -v87
	s_delay_alu instid0(VALU_DEP_2)
	v_fmac_f16_e32 v5, v18, v7
	v_fma_f16 v7, v17, v21, -v22
	v_add_nc_u32_e32 v17, 0x1400, v98
	ds_load_2addr_b32 v[86:87], v17 offset0:64 offset1:120
	s_waitcnt lgkmcnt(0)
	v_lshrrev_b32_e32 v16, 16, v86
	v_mul_f16_e32 v18, v119, v86
	s_delay_alu instid0(VALU_DEP_2) | instskip(NEXT) | instid1(VALU_DEP_2)
	v_mul_f16_e32 v21, v119, v16
	v_fma_f16 v22, v19, v16, -v18
	v_add_nc_u32_e32 v18, 0x1800, v98
	s_delay_alu instid0(VALU_DEP_3)
	v_fmac_f16_e32 v21, v19, v86
	ds_load_2addr_b32 v[88:89], v18 offset0:144 offset1:200
	s_waitcnt lgkmcnt(0)
	v_lshrrev_b32_e32 v16, 16, v88
	v_mul_f16_e64 v86, v236, v88
	v_lshrrev_b32_e32 v19, 16, v89
	s_delay_alu instid0(VALU_DEP_3) | instskip(NEXT) | instid1(VALU_DEP_3)
	v_mul_f16_e64 v101, v236, v16
	v_fma_f16 v104, v58, v16, -v86
	s_delay_alu instid0(VALU_DEP_3) | instskip(NEXT) | instid1(VALU_DEP_3)
	v_mul_f16_e64 v91, v236, v19
	v_fmac_f16_e32 v101, v58, v88
	v_lshrrev_b32_e32 v88, 16, v87
	s_delay_alu instid0(VALU_DEP_3) | instskip(SKIP_1) | instid1(VALU_DEP_3)
	v_fmac_f16_e32 v91, v58, v89
	v_mul_f16_e64 v89, v236, v89
	v_mul_f16_e64 v102, v234, v88
	s_delay_alu instid0(VALU_DEP_2) | instskip(NEXT) | instid1(VALU_DEP_2)
	v_fma_f16 v94, v58, v19, -v89
	v_fmac_f16_e32 v102, v57, v87
	v_mul_f16_e64 v87, v234, v87
	s_delay_alu instid0(VALU_DEP_1)
	v_fma_f16 v105, v57, v88, -v87
	ds_load_2addr_b32 v[87:88], v17 offset0:176 offset1:232
	s_waitcnt lgkmcnt(0)
	v_lshrrev_b32_e32 v16, 16, v87
	v_mul_f16_e64 v86, v234, v87
	v_mul_f16_e64 v19, v252, v88
	s_delay_alu instid0(VALU_DEP_3) | instskip(NEXT) | instid1(VALU_DEP_3)
	v_mul_f16_e64 v92, v234, v16
	v_fma_f16 v93, v57, v16, -v86
	v_lshrrev_b32_e32 v16, 16, v88
	s_delay_alu instid0(VALU_DEP_3) | instskip(NEXT) | instid1(VALU_DEP_2)
	v_fmac_f16_e32 v92, v57, v87
	v_mul_f16_e64 v87, v252, v16
	s_delay_alu instid0(VALU_DEP_1)
	v_fmac_f16_e32 v87, v63, v88
	v_fma_f16 v88, v63, v16, -v19
	v_add_nc_u32_e32 v16, 0x1c00, v98
	ds_load_2addr_b32 v[57:58], v16 offset1:56
	s_waitcnt lgkmcnt(0)
	v_lshrrev_b32_e32 v19, 16, v57
	v_mul_f16_e64 v63, v253, v57
	v_mul_f16_e64 v106, v254, v58
	s_delay_alu instid0(VALU_DEP_3) | instskip(NEXT) | instid1(VALU_DEP_3)
	v_mul_f16_e64 v90, v253, v19
	v_fma_f16 v89, v64, v19, -v63
	v_lshrrev_b32_e32 v19, 16, v58
	s_delay_alu instid0(VALU_DEP_3) | instskip(NEXT) | instid1(VALU_DEP_2)
	v_fmac_f16_e32 v90, v64, v57
	v_mul_f16_e64 v63, v254, v19
	s_delay_alu instid0(VALU_DEP_1)
	v_fmac_f16_e32 v63, v62, v58
	ds_load_2addr_b32 v[57:58], v18 offset0:32 offset1:88
	v_fma_f16 v62, v62, v19, -v106
	s_waitcnt lgkmcnt(0)
	v_lshrrev_b32_e32 v64, 16, v57
	v_mul_f16_e64 v107, v255, v57
	s_delay_alu instid0(VALU_DEP_2) | instskip(NEXT) | instid1(VALU_DEP_2)
	v_mul_f16_e64 v86, v255, v64
	v_fma_f16 v64, v61, v64, -v107
	s_delay_alu instid0(VALU_DEP_2) | instskip(SKIP_2) | instid1(VALU_DEP_2)
	v_fmac_f16_e32 v86, v61, v57
	v_lshrrev_b32_e32 v57, 16, v58
	v_mul_f16_e32 v61, v114, v58
	v_mul_f16_e32 v19, v114, v57
	s_delay_alu instid0(VALU_DEP_2) | instskip(NEXT) | instid1(VALU_DEP_2)
	v_fma_f16 v57, v59, v57, -v61
	v_fmac_f16_e32 v19, v59, v58
	ds_load_b32 v59, v98 offset:7616
	s_waitcnt lgkmcnt(0)
	v_lshrrev_b32_e32 v61, 16, v59
	v_mul_f16_e32 v106, v117, v59
	s_delay_alu instid0(VALU_DEP_2) | instskip(NEXT) | instid1(VALU_DEP_1)
	v_mul_f16_e32 v58, v117, v61
	v_fmac_f16_e32 v58, v60, v59
	s_delay_alu instid0(VALU_DEP_3)
	v_fma_f16 v59, v60, v61, -v106
	v_add_f16_e32 v106, v99, v101
	v_sub_f16_e32 v99, v99, v101
	v_add_f16_e32 v101, v97, v104
	v_sub_f16_e32 v97, v97, v104
	v_add_f16_e32 v104, v49, v102
	v_sub_f16_e32 v49, v49, v102
	v_add_f16_e32 v102, v96, v105
	v_sub_f16_e32 v105, v96, v105
	v_add_f16_e32 v96, v103, v95
	v_add_f16_e32 v60, v104, v106
	v_sub_f16_e32 v95, v95, v103
	v_add_f16_e32 v103, v48, v100
	v_sub_f16_e32 v48, v100, v48
	v_sub_f16_e32 v109, v96, v104
	v_add_f16_e32 v100, v96, v60
	v_add_f16_e32 v60, v102, v101
	;; [unrolled: 1-line block ×3, first 2 shown]
	v_sub_f16_e32 v111, v95, v49
	v_sub_f16_e32 v112, v99, v95
	v_add_f16_e32 v95, v48, v105
	v_add_f16_e32 v107, v103, v60
	ds_load_2addr_b32 v[60:61], v98 offset1:56
	v_sub_f16_e32 v113, v48, v105
	v_sub_f16_e32 v48, v97, v48
	v_add_f16_e32 v114, v95, v97
	v_mul_f16_e32 v111, 0x3846, v111
	v_add_f16_e32 v110, v110, v99
	v_mul_f16_e32 v113, 0x3846, v113
	v_sub_f16_e32 v49, v49, v99
	v_sub_f16_e32 v97, v105, v97
	v_fmamk_f16 v119, v112, 0xb574, v111
	v_mul_f16_e32 v99, 0x2b26, v109
	v_fmamk_f16 v118, v48, 0xb574, v113
	s_delay_alu instid0(VALU_DEP_3) | instskip(NEXT) | instid1(VALU_DEP_2)
	v_fmac_f16_e32 v119, 0xb70e, v110
	v_fmac_f16_e32 v118, 0xb70e, v114
	s_waitcnt lgkmcnt(0)
	v_lshrrev_b32_e32 v108, 16, v60
	v_add_f16_e32 v60, v60, v100
	s_delay_alu instid0(VALU_DEP_2) | instskip(NEXT) | instid1(VALU_DEP_2)
	v_add_f16_e32 v108, v108, v107
	v_fmamk_f16 v100, v100, 0xbcab, v60
	s_delay_alu instid0(VALU_DEP_2)
	v_fmamk_f16 v107, v107, 0xbcab, v108
	v_pack_b32_f16 v60, v60, v108
	v_sub_f16_e32 v108, v106, v96
	v_sub_f16_e32 v96, v101, v103
	;; [unrolled: 1-line block ×4, first 2 shown]
	s_delay_alu instid0(VALU_DEP_4) | instskip(NEXT) | instid1(VALU_DEP_4)
	v_mul_f16_e32 v108, 0x3a52, v108
	v_mul_f16_e32 v115, 0x3a52, v96
	s_delay_alu instid0(VALU_DEP_4) | instskip(NEXT) | instid1(VALU_DEP_3)
	v_mul_f16_e32 v102, 0x2b26, v103
	v_fmamk_f16 v95, v109, 0x2b26, v108
	s_delay_alu instid0(VALU_DEP_2) | instskip(NEXT) | instid1(VALU_DEP_4)
	v_fma_f16 v102, v101, 0x39e0, -v102
	v_fma_f16 v101, v101, 0xb9e0, -v115
	s_delay_alu instid0(VALU_DEP_3) | instskip(SKIP_3) | instid1(VALU_DEP_3)
	v_add_f16_e32 v116, v95, v100
	v_fmamk_f16 v95, v103, 0x2b26, v115
	v_fma_f16 v103, v49, 0xbb00, -v111
	v_mul_f16_e32 v49, 0xbb00, v49
	v_add_f16_e32 v117, v95, v107
	v_add_f16_e32 v95, v118, v116
	s_delay_alu instid0(VALU_DEP_3) | instskip(SKIP_1) | instid1(VALU_DEP_4)
	v_fma_f16 v49, v112, 0x3574, -v49
	v_fmac_f16_e32 v103, 0xb70e, v110
	v_sub_f16_e32 v96, v117, v119
	s_delay_alu instid0(VALU_DEP_3) | instskip(NEXT) | instid1(VALU_DEP_2)
	v_fmac_f16_e32 v49, 0xb70e, v110
	v_pack_b32_f16 v120, v95, v96
	ds_load_2addr_b32 v[95:96], v98 offset0:112 offset1:168
	s_waitcnt lgkmcnt(0)
	s_barrier
	buffer_gl0_inv
	ds_store_2addr_b32 v98, v60, v120 offset1:56
	v_sub_f16_e32 v60, v104, v106
	v_fma_f16 v104, v97, 0xbb00, -v113
	v_mul_f16_e32 v97, 0xbb00, v97
	s_delay_alu instid0(VALU_DEP_3) | instskip(SKIP_1) | instid1(VALU_DEP_3)
	v_fma_f16 v99, v60, 0x39e0, -v99
	v_fma_f16 v60, v60, 0xb9e0, -v108
	;; [unrolled: 1-line block ×3, first 2 shown]
	v_fmac_f16_e32 v104, 0xb70e, v114
	s_delay_alu instid0(VALU_DEP_4) | instskip(NEXT) | instid1(VALU_DEP_4)
	v_add_f16_e32 v97, v99, v100
	v_add_f16_e32 v60, v60, v100
	;; [unrolled: 1-line block ×3, first 2 shown]
	v_fmac_f16_e32 v48, 0xb70e, v114
	v_add_f16_e32 v99, v102, v107
	s_delay_alu instid0(VALU_DEP_3) | instskip(NEXT) | instid1(VALU_DEP_3)
	v_sub_f16_e32 v102, v100, v49
	v_add_f16_e32 v101, v48, v60
	s_delay_alu instid0(VALU_DEP_3)
	v_add_f16_e32 v105, v103, v99
	v_sub_f16_e32 v99, v99, v103
	v_sub_f16_e32 v48, v60, v48
	v_add_f16_e32 v49, v49, v100
	v_pack_b32_f16 v101, v101, v102
	v_sub_f16_e32 v102, v97, v104
	v_add_f16_e32 v97, v104, v97
	v_add_f16_e32 v103, v84, v85
	v_pack_b32_f16 v48, v48, v49
	v_add_f16_e32 v49, v119, v117
	v_pack_b32_f16 v102, v102, v105
	v_pack_b32_f16 v60, v97, v99
	v_add_f16_e32 v97, v70, v92
	v_add_f16_e32 v99, v83, v73
	v_sub_f16_e32 v70, v70, v92
	ds_store_2addr_b32 v98, v101, v102 offset0:112 offset1:168
	ds_store_2addr_b32 v65, v60, v48 offset0:96 offset1:152
	v_sub_f16_e32 v48, v116, v118
	v_add_f16_e32 v60, v80, v91
	v_add_f16_e32 v102, v82, v93
	v_lshrrev_b32_e32 v101, 16, v61
	v_sub_f16_e32 v73, v73, v83
	v_pack_b32_f16 v48, v48, v49
	v_add_f16_e32 v49, v81, v94
	v_add_f16_e32 v100, v97, v60
	v_sub_f16_e32 v83, v97, v60
	v_sub_f16_e32 v60, v60, v99
	v_add_f16_e32 v92, v73, v70
	v_add_f16_e32 v104, v102, v49
	;; [unrolled: 1-line block ×3, first 2 shown]
	s_delay_alu instid0(VALU_DEP_4) | instskip(NEXT) | instid1(VALU_DEP_3)
	v_mul_f16_e32 v60, 0x3a52, v60
	v_add_f16_e32 v104, v103, v104
	s_delay_alu instid0(VALU_DEP_3) | instskip(NEXT) | instid1(VALU_DEP_2)
	v_add_f16_e32 v61, v61, v100
	v_add_f16_e32 v101, v101, v104
	s_delay_alu instid0(VALU_DEP_1)
	v_pack_b32_f16 v105, v61, v101
	v_fmamk_f16 v61, v100, 0xbcab, v61
	ds_store_2addr_b32 v55, v48, v105 offset0:80 offset1:136
	v_sub_f16_e32 v48, v80, v91
	v_sub_f16_e32 v80, v81, v94
	;; [unrolled: 1-line block ×9, first 2 shown]
	v_add_f16_e32 v48, v92, v48
	v_add_f16_e32 v92, v82, v81
	v_sub_f16_e32 v94, v82, v81
	v_sub_f16_e32 v81, v81, v80
	v_fmamk_f16 v100, v84, 0x2b26, v60
	v_mul_f16_e32 v84, 0x2b26, v84
	v_sub_f16_e32 v85, v102, v49
	v_sub_f16_e32 v49, v49, v103
	;; [unrolled: 1-line block ×3, first 2 shown]
	v_mul_f16_e32 v93, 0x3846, v93
	v_mul_f16_e32 v94, 0x3846, v94
	;; [unrolled: 1-line block ×3, first 2 shown]
	v_fma_f16 v60, v83, 0xb9e0, -v60
	v_fma_f16 v83, v83, 0x39e0, -v84
	v_mul_f16_e32 v84, 0x2b26, v91
	v_add_f16_e32 v80, v92, v80
	v_fmamk_f16 v92, v104, 0xbcab, v101
	v_mul_f16_e32 v49, 0x3a52, v49
	v_mul_f16_e32 v97, 0xbb00, v70
	v_fma_f16 v99, v82, 0x3574, -v99
	v_fmamk_f16 v82, v82, 0xb574, v94
	v_fma_f16 v81, v81, 0xbb00, -v94
	v_fma_f16 v84, v85, 0x39e0, -v84
	;; [unrolled: 1-line block ×4, first 2 shown]
	v_fmamk_f16 v73, v73, 0xb574, v93
	v_add_f16_e32 v100, v100, v61
	v_fmamk_f16 v101, v91, 0x2b26, v49
	v_fmac_f16_e32 v82, 0xb70e, v80
	v_add_f16_e32 v60, v60, v61
	v_fmac_f16_e32 v99, 0xb70e, v80
	v_add_f16_e32 v61, v83, v61
	;; [unrolled: 2-line block ×4, first 2 shown]
	v_fmac_f16_e32 v73, 0xb70e, v48
	v_fma_f16 v49, v85, 0xb9e0, -v49
	v_fmac_f16_e32 v97, 0xb70e, v48
	v_sub_f16_e32 v48, v61, v81
	v_add_f16_e32 v61, v81, v61
	v_add_f16_e32 v81, v70, v80
	v_sub_f16_e32 v70, v80, v70
	v_add_f16_e32 v102, v82, v100
	v_sub_f16_e32 v103, v101, v73
	v_add_f16_e32 v49, v49, v92
	v_pack_b32_f16 v48, v48, v81
	v_pack_b32_f16 v61, v61, v70
	v_add_f16_e32 v70, v77, v87
	v_pack_b32_f16 v102, v102, v103
	v_add_f16_e32 v103, v99, v60
	v_sub_f16_e32 v104, v49, v97
	ds_store_2addr_b32 v66, v48, v61 offset0:48 offset1:104
	v_sub_f16_e32 v48, v60, v99
	v_add_f16_e32 v49, v97, v49
	v_sub_f16_e32 v60, v100, v82
	v_add_f16_e32 v61, v73, v101
	v_add_f16_e32 v73, v76, v88
	v_lshrrev_b32_e32 v80, 16, v95
	v_pack_b32_f16 v48, v48, v49
	v_pack_b32_f16 v103, v103, v104
	;; [unrolled: 1-line block ×3, first 2 shown]
	v_add_f16_e32 v60, v75, v89
	v_sub_f16_e32 v61, v75, v89
	v_sub_f16_e32 v75, v76, v88
	v_add_f16_e32 v76, v72, v78
	ds_store_2addr_b32 v66, v48, v49 offset0:160 offset1:216
	v_add_f16_e32 v48, v71, v90
	v_sub_f16_e32 v49, v71, v90
	v_sub_f16_e32 v71, v77, v87
	;; [unrolled: 1-line block ×3, first 2 shown]
	v_add_f16_e32 v77, v74, v79
	v_sub_f16_e32 v74, v79, v74
	v_add_f16_e32 v78, v70, v48
	v_add_f16_e32 v79, v73, v60
	;; [unrolled: 1-line block ×3, first 2 shown]
	v_sub_f16_e32 v84, v72, v71
	v_sub_f16_e32 v72, v49, v72
	v_add_f16_e32 v78, v76, v78
	v_add_f16_e32 v79, v77, v79
	;; [unrolled: 1-line block ×3, first 2 shown]
	v_sub_f16_e32 v87, v74, v75
	v_add_f16_e32 v83, v83, v49
	v_add_f16_e32 v81, v95, v78
	v_add_f16_e32 v80, v80, v79
	v_mul_f16_e32 v84, 0x3846, v84
	v_sub_f16_e32 v49, v71, v49
	v_sub_f16_e32 v82, v60, v77
	v_fmamk_f16 v78, v78, 0xbcab, v81
	v_fmamk_f16 v79, v79, 0xbcab, v80
	v_pack_b32_f16 v80, v81, v80
	v_sub_f16_e32 v81, v48, v76
	v_sub_f16_e32 v76, v76, v70
	;; [unrolled: 1-line block ×4, first 2 shown]
	v_add_f16_e32 v85, v85, v61
	v_mul_f16_e32 v87, 0x3846, v87
	v_sub_f16_e32 v60, v73, v60
	v_sub_f16_e32 v61, v75, v61
	v_fma_f16 v73, v49, 0xbb00, -v84
	v_mul_f16_e32 v49, 0xbb00, v49
	v_mul_f16_e32 v81, 0x3a52, v81
	;; [unrolled: 1-line block ×3, first 2 shown]
	v_fmamk_f16 v91, v72, 0xb574, v84
	v_sub_f16_e32 v48, v70, v48
	v_mul_f16_e32 v70, 0x2b26, v76
	v_mul_f16_e32 v71, 0x2b26, v77
	v_fma_f16 v49, v72, 0x3574, -v49
	v_fma_f16 v72, v61, 0xbb00, -v87
	v_mul_f16_e32 v61, 0xbb00, v61
	v_fma_f16 v70, v48, 0x39e0, -v70
	v_fma_f16 v48, v48, 0xb9e0, -v81
	;; [unrolled: 1-line block ×5, first 2 shown]
	v_fmac_f16_e32 v49, 0xb70e, v83
	v_add_f16_e32 v48, v48, v78
	v_fmamk_f16 v90, v74, 0xb574, v87
	v_add_f16_e32 v60, v60, v79
	v_fmac_f16_e32 v61, 0xb70e, v85
	v_add_f16_e32 v70, v70, v78
	v_add_f16_e32 v71, v71, v79
	v_fmac_f16_e32 v73, 0xb70e, v83
	v_fmac_f16_e32 v72, 0xb70e, v85
	v_add_f16_e32 v74, v61, v48
	v_sub_f16_e32 v75, v60, v49
	v_fmamk_f16 v88, v76, 0x2b26, v81
	v_add_f16_e32 v76, v73, v71
	v_sub_f16_e32 v71, v71, v73
	v_sub_f16_e32 v48, v48, v61
	v_pack_b32_f16 v74, v74, v75
	v_sub_f16_e32 v75, v70, v72
	v_add_f16_e32 v70, v72, v70
	v_add_f16_e32 v49, v49, v60
	v_fmamk_f16 v89, v77, 0x2b26, v82
	ds_store_2addr_b32 v55, v102, v103 offset0:192 offset1:248
	v_add_f16_e32 v88, v88, v78
	v_pack_b32_f16 v60, v70, v71
	v_pack_b32_f16 v48, v48, v49
	v_add_nc_u32_e32 v49, 0xe00, v235
	v_add_f16_e32 v89, v89, v79
	v_fmac_f16_e32 v90, 0xb70e, v85
	v_fmac_f16_e32 v91, 0xb70e, v83
	v_sub_f16_e32 v61, v67, v62
	ds_store_2addr_b32 v49, v60, v48 offset0:112 offset1:168
	v_add_f16_e32 v48, v69, v63
	v_sub_f16_e32 v49, v69, v63
	v_add_f16_e32 v60, v67, v62
	v_add_f16_e32 v62, v24, v86
	;; [unrolled: 1-line block ×4, first 2 shown]
	v_sub_f16_e32 v93, v89, v91
	v_sub_f16_e32 v24, v24, v86
	;; [unrolled: 1-line block ×3, first 2 shown]
	v_add_f16_e32 v64, v68, v25
	v_sub_f16_e32 v25, v25, v68
	v_add_f16_e32 v67, v27, v23
	v_sub_f16_e32 v23, v23, v27
	v_add_f16_e32 v27, v62, v48
	v_add_f16_e32 v70, v63, v60
	v_pack_b32_f16 v92, v92, v93
	v_add_nc_u32_e32 v93, 0xc00, v235
	v_pack_b32_f16 v75, v75, v76
	v_add_f16_e32 v27, v64, v27
	v_lshrrev_b32_e32 v68, 16, v96
	v_add_f16_e32 v70, v67, v70
	v_sub_f16_e32 v73, v25, v24
	ds_store_2addr_b32 v93, v74, v75 offset0:128 offset1:184
	v_add_f16_e32 v69, v96, v27
	v_add_f16_e32 v72, v25, v24
	;; [unrolled: 1-line block ×3, first 2 shown]
	v_sub_f16_e32 v75, v23, v26
	v_mul_f16_e32 v73, 0x3846, v73
	v_sub_f16_e32 v24, v24, v49
	v_fmamk_f16 v27, v27, 0xbcab, v69
	v_fmamk_f16 v70, v70, 0xbcab, v68
	v_pack_b32_f16 v68, v69, v68
	v_sub_f16_e32 v69, v48, v64
	v_sub_f16_e32 v64, v64, v62
	;; [unrolled: 1-line block ×5, first 2 shown]
	v_add_f16_e32 v74, v23, v26
	v_mul_f16_e32 v75, 0x3846, v75
	v_sub_f16_e32 v48, v62, v48
	v_sub_f16_e32 v26, v26, v61
	v_fma_f16 v62, v24, 0xbb00, -v73
	v_mul_f16_e32 v24, 0xbb00, v24
	v_sub_f16_e32 v23, v61, v23
	v_add_f16_e32 v72, v72, v49
	v_mul_f16_e32 v69, 0x3a52, v69
	v_add_f16_e32 v74, v74, v61
	v_mul_f16_e32 v71, 0x3a52, v71
	v_fmamk_f16 v79, v25, 0xb574, v73
	v_sub_f16_e32 v60, v63, v60
	v_mul_f16_e32 v49, 0x2b26, v64
	v_mul_f16_e32 v61, 0x2b26, v67
	v_fma_f16 v24, v25, 0x3574, -v24
	v_fma_f16 v25, v26, 0xbb00, -v75
	v_mul_f16_e32 v26, 0xbb00, v26
	v_fmamk_f16 v76, v64, 0x2b26, v69
	v_fmamk_f16 v78, v23, 0xb574, v75
	v_fma_f16 v49, v48, 0x39e0, -v49
	v_fma_f16 v48, v48, 0xb9e0, -v69
	;; [unrolled: 1-line block ×5, first 2 shown]
	v_add_f16_e32 v76, v76, v27
	v_add_f16_e32 v26, v49, v27
	;; [unrolled: 1-line block ×4, first 2 shown]
	v_fmac_f16_e32 v24, 0xb70e, v72
	v_fmac_f16_e32 v23, 0xb70e, v74
	v_add_f16_e32 v48, v61, v70
	v_fmac_f16_e32 v62, 0xb70e, v72
	v_fmac_f16_e32 v25, 0xb70e, v74
	v_sub_f16_e32 v61, v49, v24
	v_add_f16_e32 v60, v23, v27
	v_sub_f16_e32 v23, v27, v23
	v_add_f16_e32 v63, v62, v48
	v_add_f16_e32 v24, v24, v49
	v_lshrrev_b32_e32 v27, 16, v0
	v_pack_b32_f16 v60, v60, v61
	v_sub_f16_e32 v61, v26, v25
	v_add_f16_e32 v25, v25, v26
	v_sub_f16_e32 v26, v48, v62
	v_pack_b32_f16 v23, v23, v24
	v_add_f16_e32 v24, v20, v59
	v_pack_b32_f16 v61, v61, v63
	v_add_nc_u32_e32 v63, 0x1400, v240
	v_pack_b32_f16 v25, v25, v26
	v_add_f16_e32 v26, v5, v21
	v_sub_f16_e32 v5, v21, v5
	v_add_f16_e32 v21, v6, v22
	v_sub_f16_e32 v6, v22, v6
	ds_store_2addr_b32 v63, v25, v23 offset0:120 offset1:176
	v_add_f16_e32 v23, v2, v58
	v_add_f16_e32 v25, v4, v19
	v_sub_f16_e32 v4, v4, v19
	v_add_f16_e32 v19, v7, v57
	v_sub_f16_e32 v7, v7, v57
	v_fmamk_f16 v77, v67, 0x2b26, v71
	v_add_f16_e32 v22, v25, v23
	ds_store_2addr_b32 v63, v60, v61 offset0:8 offset1:64
	v_add_f16_e32 v48, v19, v24
	v_sub_f16_e32 v2, v2, v58
	v_sub_f16_e32 v20, v20, v59
	v_add_f16_e32 v22, v26, v22
	v_sub_f16_e32 v49, v24, v21
	v_add_f16_e32 v48, v21, v48
	v_sub_f16_e32 v58, v5, v4
	v_sub_f16_e32 v60, v6, v7
	v_add_f16_e32 v0, v0, v22
	v_add_f16_e32 v77, v77, v70
	;; [unrolled: 1-line block ×3, first 2 shown]
	v_fmac_f16_e32 v78, 0xb70e, v74
	v_fmac_f16_e32 v79, 0xb70e, v72
	v_fmamk_f16 v22, v22, 0xbcab, v0
	v_sub_f16_e32 v21, v21, v19
	v_fmamk_f16 v48, v48, 0xbcab, v27
	v_pack_b32_f16 v0, v0, v27
	v_sub_f16_e32 v27, v23, v26
	v_sub_f16_e32 v26, v26, v25
	v_add_f16_e32 v57, v5, v4
	v_sub_f16_e32 v5, v2, v5
	v_add_f16_e32 v59, v6, v7
	v_sub_f16_e32 v6, v20, v6
	v_mul_f16_e32 v27, 0x3a52, v27
	v_mul_f16_e32 v49, 0x3a52, v49
	;; [unrolled: 1-line block ×4, first 2 shown]
	ds_store_2addr_b32 v93, v80, v92 offset0:16 offset1:72
	v_add_f16_e32 v80, v78, v76
	v_sub_f16_e32 v81, v77, v79
	v_add_f16_e32 v57, v57, v2
	v_add_f16_e32 v59, v59, v20
	v_fmamk_f16 v61, v26, 0x2b26, v27
	v_fmamk_f16 v62, v21, 0x2b26, v49
	;; [unrolled: 1-line block ×4, first 2 shown]
	v_pack_b32_f16 v80, v80, v81
	v_add_nc_u32_e32 v81, 0x1000, v240
	v_add_f16_e32 v61, v61, v22
	v_add_f16_e32 v62, v62, v48
	v_fmac_f16_e32 v63, 0xb70e, v59
	v_fmac_f16_e32 v64, 0xb70e, v57
	ds_store_2addr_b32 v81, v68, v80 offset0:152 offset1:208
	v_sub_f16_e32 v2, v4, v2
	v_sub_f16_e32 v4, v7, v20
	v_add_f16_e32 v67, v63, v61
	v_sub_f16_e32 v68, v62, v64
	v_mul_f16_e32 v20, 0x2b26, v21
	v_fma_f16 v21, v2, 0xbb00, -v58
	v_mul_f16_e32 v2, 0xbb00, v2
	v_sub_f16_e32 v19, v19, v24
	v_pack_b32_f16 v67, v67, v68
	v_add_nc_u32_e32 v68, 0x1800, v248
	v_mul_f16_e32 v7, 0x2b26, v26
	v_fma_f16 v2, v5, 0x3574, -v2
	v_fma_f16 v5, v4, 0xbb00, -v60
	v_mul_f16_e32 v4, 0xbb00, v4
	ds_store_2addr_b32 v68, v0, v67 offset0:32 offset1:88
	v_sub_f16_e32 v0, v25, v23
	v_fma_f16 v20, v19, 0x39e0, -v20
	v_fma_f16 v19, v19, 0xb9e0, -v49
	v_fma_f16 v4, v6, 0x3574, -v4
	v_fmac_f16_e32 v2, 0xb70e, v57
	v_fma_f16 v7, v0, 0x39e0, -v7
	v_fma_f16 v0, v0, 0xb9e0, -v27
	v_add_f16_e32 v19, v19, v48
	v_fmac_f16_e32 v4, 0xb70e, v59
	v_fmac_f16_e32 v21, 0xb70e, v57
	v_add_f16_e32 v6, v7, v22
	v_add_f16_e32 v0, v0, v22
	v_add_f16_e32 v7, v20, v48
	v_fmac_f16_e32 v5, 0xb70e, v59
	v_sub_f16_e32 v22, v19, v2
	v_add_f16_e32 v2, v2, v19
	v_add_f16_e32 v20, v4, v0
	v_sub_f16_e32 v0, v0, v4
	v_add_f16_e32 v23, v21, v7
	s_delay_alu instid0(VALU_DEP_3)
	v_pack_b32_f16 v20, v20, v22
	v_sub_f16_e32 v22, v6, v5
	v_add_f16_e32 v5, v5, v6
	v_sub_f16_e32 v6, v7, v21
	v_pack_b32_f16 v0, v0, v2
	v_add_nc_u32_e32 v2, 0x1c00, v248
	v_pack_b32_f16 v22, v22, v23
	s_delay_alu instid0(VALU_DEP_4)
	v_pack_b32_f16 v4, v5, v6
	v_add_f16_e32 v5, v79, v77
	ds_store_2addr_b32 v68, v20, v22 offset0:144 offset1:200
	ds_store_2addr_b32 v2, v4, v0 offset1:56
	v_sub_f16_e32 v0, v88, v90
	v_add_f16_e32 v2, v91, v89
	v_sub_f16_e32 v4, v76, v78
	s_delay_alu instid0(VALU_DEP_2) | instskip(NEXT) | instid1(VALU_DEP_2)
	v_pack_b32_f16 v0, v0, v2
	v_pack_b32_f16 v2, v4, v5
	v_add_f16_e32 v4, v64, v62
	ds_store_b32 v235, v0 offset:4480
	v_sub_f16_e32 v0, v61, v63
	s_delay_alu instid0(VALU_DEP_1)
	v_pack_b32_f16 v0, v0, v4
	ds_store_b32 v240, v2 offset:6048
	ds_store_b32 v248, v0 offset:7616
	s_waitcnt lgkmcnt(0)
	s_barrier
	buffer_gl0_inv
	ds_load_2addr_b32 v[4:5], v55 offset0:192 offset1:248
	ds_load_2addr_b32 v[82:83], v53 offset0:16 offset1:72
	;; [unrolled: 1-line block ×4, first 2 shown]
	s_waitcnt lgkmcnt(3)
	v_lshrrev_b32_e32 v0, 16, v4
	v_mul_f16_e64 v2, v129, v4
	s_waitcnt lgkmcnt(0)
	v_lshrrev_b32_e32 v22, 16, v21
	v_mul_f16_e64 v26, v175, v21
	v_mul_f16_e64 v73, v129, v0
	v_fma_f16 v74, v12, v0, -v2
	v_lshrrev_b32_e32 v0, 16, v83
	v_mul_f16_e64 v2, v251, v83
	s_delay_alu instid0(VALU_DEP_4) | instskip(NEXT) | instid1(VALU_DEP_3)
	v_fmac_f16_e32 v73, v12, v4
	v_mul_f16_e64 v77, v251, v0
	s_delay_alu instid0(VALU_DEP_3)
	v_fma_f16 v76, v13, v0, -v2
	ds_load_2addr_b32 v[0:1], v1 offset0:80 offset1:136
	v_fmac_f16_e32 v77, v13, v83
	s_waitcnt lgkmcnt(0)
	v_lshrrev_b32_e32 v2, 16, v0
	v_mul_f16_e64 v6, v128, v0
	v_lshrrev_b32_e32 v4, 16, v1
	s_delay_alu instid0(VALU_DEP_3) | instskip(NEXT) | instid1(VALU_DEP_3)
	v_mul_f16_e64 v78, v128, v2
	v_fma_f16 v79, v14, v2, -v6
	v_lshrrev_b32_e32 v2, 16, v85
	v_mul_f16_e64 v6, v250, v85
	v_mul_f16_e64 v70, v130, v4
	v_fmac_f16_e32 v78, v14, v0
	v_lshrrev_b32_e32 v0, 16, v5
	v_mul_f16_e64 v81, v250, v2
	v_fma_f16 v80, v15, v2, -v6
	v_mul_f16_e64 v2, v133, v5
	v_fmac_f16_e32 v70, v34, v1
	v_mul_f16_e64 v64, v133, v0
	v_fmac_f16_e32 v81, v15, v85
	v_sub_f16_e32 v83, v77, v78
	v_fma_f16 v67, v32, v0, -v2
	v_sub_f16_e32 v85, v74, v80
	v_fmac_f16_e32 v64, v32, v5
	v_mul_f16_e64 v5, v130, v1
	ds_load_2addr_b32 v[0:1], v53 offset0:128 offset1:184
	v_sub_f16_e32 v86, v73, v81
	v_fma_f16 v68, v34, v4, -v5
	ds_load_2addr_b32 v[4:5], v18 offset0:144 offset1:200
	s_waitcnt lgkmcnt(1)
	v_lshrrev_b32_e32 v2, 16, v0
	v_mul_f16_e64 v6, v137, v0
	s_delay_alu instid0(VALU_DEP_2) | instskip(NEXT) | instid1(VALU_DEP_2)
	v_mul_f16_e64 v71, v137, v2
	v_fma_f16 v69, v33, v2, -v6
	s_waitcnt lgkmcnt(0)
	v_lshrrev_b32_e32 v2, 16, v4
	v_mul_f16_e64 v6, v135, v4
	v_mul_f16_e64 v7, v143, v5
	v_fmac_f16_e32 v71, v33, v0
	s_delay_alu instid0(VALU_DEP_4) | instskip(NEXT) | instid1(VALU_DEP_4)
	v_mul_f16_e64 v75, v135, v2
	v_fma_f16 v72, v35, v2, -v6
	v_lshrrev_b32_e32 v2, 16, v1
	v_lshrrev_b32_e32 v6, 16, v5
	s_delay_alu instid0(VALU_DEP_4) | instskip(SKIP_1) | instid1(VALU_DEP_4)
	v_fmac_f16_e32 v75, v35, v4
	v_mul_f16_e64 v4, v145, v1
	v_mul_f16_e64 v35, v145, v2
	s_delay_alu instid0(VALU_DEP_4) | instskip(SKIP_1) | instid1(VALU_DEP_4)
	v_mul_f16_e64 v57, v143, v6
	v_fma_f16 v62, v31, v6, -v7
	v_fma_f16 v59, v29, v2, -v4
	s_delay_alu instid0(VALU_DEP_4)
	v_fmac_f16_e32 v35, v29, v1
	ds_load_2addr_b32 v[0:1], v66 offset0:48 offset1:104
	v_fmac_f16_e32 v57, v31, v5
	s_waitcnt lgkmcnt(0)
	v_lshrrev_b32_e32 v5, 16, v0
	v_mul_f16_e64 v12, v144, v0
	s_delay_alu instid0(VALU_DEP_2) | instskip(NEXT) | instid1(VALU_DEP_2)
	v_mul_f16_e64 v60, v144, v5
	v_fma_f16 v58, v28, v5, -v12
	ds_load_2addr_b32 v[4:5], v17 offset0:64 offset1:120
	v_fmac_f16_e32 v60, v28, v0
	v_lshrrev_b32_e32 v0, 16, v1
	s_delay_alu instid0(VALU_DEP_1) | instskip(NEXT) | instid1(VALU_DEP_1)
	v_mul_f16_e64 v23, v154, v0
	v_fmac_f16_e32 v23, v36, v1
	s_waitcnt lgkmcnt(0)
	v_lshrrev_b32_e32 v2, 16, v4
	v_mul_f16_e64 v12, v142, v4
	s_delay_alu instid0(VALU_DEP_2) | instskip(NEXT) | instid1(VALU_DEP_2)
	v_mul_f16_e64 v63, v142, v2
	v_fma_f16 v61, v30, v2, -v12
	v_mul_f16_e64 v2, v154, v1
	s_delay_alu instid0(VALU_DEP_3) | instskip(SKIP_1) | instid1(VALU_DEP_3)
	v_fmac_f16_e32 v63, v30, v4
	v_lshrrev_b32_e32 v4, 16, v5
	v_fma_f16 v27, v36, v0, -v2
	ds_load_2addr_b32 v[0:1], v3 offset0:112 offset1:168
	v_mul_f16_e64 v29, v146, v4
	s_delay_alu instid0(VALU_DEP_1) | instskip(SKIP_1) | instid1(VALU_DEP_1)
	v_fmac_f16_e32 v29, v38, v5
	v_mul_f16_e64 v5, v146, v5
	v_fma_f16 v30, v38, v4, -v5
	s_waitcnt lgkmcnt(0)
	v_lshrrev_b32_e32 v2, 16, v0
	v_mul_f16_e64 v6, v155, v0
	v_mul_f16_e64 v7, v162, v1
	s_delay_alu instid0(VALU_DEP_3) | instskip(NEXT) | instid1(VALU_DEP_3)
	v_mul_f16_e64 v31, v155, v2
	v_fma_f16 v28, v37, v2, -v6
	ds_load_2addr_b32 v[5:6], v16 offset1:56
	v_fmac_f16_e32 v31, v37, v0
	s_waitcnt lgkmcnt(0)
	v_lshrrev_b32_e32 v2, 16, v5
	v_mul_f16_e64 v4, v149, v5
	v_lshrrev_b32_e32 v14, 16, v6
	v_mul_f16_e64 v19, v157, v6
	s_delay_alu instid0(VALU_DEP_4) | instskip(NEXT) | instid1(VALU_DEP_4)
	v_mul_f16_e64 v34, v149, v2
	v_fma_f16 v33, v39, v2, -v4
	v_lshrrev_b32_e32 v2, 16, v1
	s_delay_alu instid0(VALU_DEP_4) | instskip(NEXT) | instid1(VALU_DEP_4)
	v_fma_f16 v19, v47, v14, -v19
	v_fmac_f16_e32 v34, v39, v5
	v_mul_f16_e64 v5, v157, v14
	s_delay_alu instid0(VALU_DEP_4)
	v_mul_f16_e64 v4, v162, v2
	v_fma_f16 v7, v45, v2, -v7
	v_lshrrev_b32_e32 v2, 16, v20
	v_mul_f16_e64 v39, v241, v82
	v_fmac_f16_e32 v5, v47, v6
	v_fmac_f16_e32 v4, v45, v1
	ds_load_2addr_b32 v[0:1], v66 offset0:160 offset1:216
	v_mul_f16_e64 v15, v158, v2
	v_mul_f16_e64 v45, v243, v84
	s_delay_alu instid0(VALU_DEP_2) | instskip(SKIP_3) | instid1(VALU_DEP_2)
	v_fmac_f16_e32 v15, v46, v20
	s_waitcnt lgkmcnt(0)
	v_lshrrev_b32_e32 v6, 16, v0
	v_mul_f16_e64 v13, v161, v0
	v_mul_f16_e64 v12, v161, v6
	s_delay_alu instid0(VALU_DEP_2)
	v_fma_f16 v6, v44, v6, -v13
	v_mul_f16_e64 v13, v158, v20
	v_mul_f16_e64 v20, v175, v22
	v_fma_f16 v22, v42, v22, -v26
	v_fmac_f16_e32 v12, v44, v0
	v_lshrrev_b32_e32 v0, 16, v1
	v_fma_f16 v13, v46, v2, -v13
	v_mul_f16_e64 v2, v179, v1
	v_fmac_f16_e32 v20, v42, v21
	v_lshrrev_b32_e32 v44, 16, v84
	v_mul_f16_e64 v14, v179, v0
	s_delay_alu instid0(VALU_DEP_4) | instskip(NEXT) | instid1(VALU_DEP_2)
	v_fma_f16 v21, v40, v0, -v2
	v_fmac_f16_e32 v14, v40, v1
	ds_load_2addr_b32 v[0:1], v56 offset0:96 offset1:152
	v_mul_f16_e64 v40, v243, v44
	s_delay_alu instid0(VALU_DEP_1)
	v_fmac_f16_e32 v40, v11, v84
	v_sub_f16_e32 v84, v76, v79
	s_waitcnt lgkmcnt(0)
	v_lshrrev_b32_e32 v2, 16, v0
	v_mul_f16_e64 v24, v163, v0
	v_lshrrev_b32_e32 v42, 16, v1
	s_delay_alu instid0(VALU_DEP_3) | instskip(NEXT) | instid1(VALU_DEP_3)
	v_mul_f16_e64 v25, v163, v2
	v_fma_f16 v24, v41, v2, -v24
	ds_load_b32 v2, v98 offset:7616
	v_mul_f16_e64 v37, v247, v42
	v_fmac_f16_e32 v25, v41, v0
	s_delay_alu instid0(VALU_DEP_2) | instskip(NEXT) | instid1(VALU_DEP_1)
	v_fmac_f16_e32 v37, v10, v1
	v_sub_f16_e32 v89, v37, v40
	s_waitcnt lgkmcnt(0)
	v_lshrrev_b32_e32 v32, 16, v2
	v_mul_f16_e64 v36, v173, v2
	s_delay_alu instid0(VALU_DEP_2) | instskip(NEXT) | instid1(VALU_DEP_2)
	v_mul_f16_e64 v26, v173, v32
	v_fma_f16 v32, v43, v32, -v36
	s_delay_alu instid0(VALU_DEP_2) | instskip(SKIP_3) | instid1(VALU_DEP_1)
	v_fmac_f16_e32 v26, v43, v2
	v_mul_f16_e64 v43, v247, v1
	ds_load_2addr_b32 v[0:1], v55 offset0:80 offset1:136
	v_lshrrev_b32_e32 v2, 16, v82
	v_mul_f16_e64 v36, v241, v2
	v_fma_f16 v39, v9, v2, -v39
	s_delay_alu instid0(VALU_DEP_2)
	v_fmac_f16_e32 v36, v9, v82
	v_fma_f16 v9, v10, v42, -v43
	v_fma_f16 v10, v11, v44, -v45
	v_add_f16_e32 v11, v73, v81
	v_sub_f16_e32 v42, v78, v81
	v_add_f16_e32 v44, v74, v80
	v_sub_f16_e32 v45, v79, v80
	;; [unrolled: 2-line block ×3, first 2 shown]
	s_waitcnt lgkmcnt(0)
	v_lshrrev_b32_e32 v38, 16, v1
	v_mul_f16_e64 v46, v245, v1
	s_delay_alu instid0(VALU_DEP_2) | instskip(NEXT) | instid1(VALU_DEP_2)
	v_mul_f16_e64 v41, v245, v38
	v_fma_f16 v38, v8, v38, -v46
	s_delay_alu instid0(VALU_DEP_2) | instskip(SKIP_4) | instid1(VALU_DEP_2)
	v_fmac_f16_e32 v41, v8, v1
	ds_load_2addr_b32 v[1:2], v98 offset1:56
	v_add_f16_e32 v8, v77, v78
	v_sub_f16_e32 v49, v41, v36
	s_waitcnt lgkmcnt(0)
	v_fma_f16 v8, -0.5, v8, v2
	v_lshrrev_b32_e32 v82, 16, v2
	v_add_f16_e32 v43, v2, v73
	v_fmac_f16_e32 v2, -0.5, v11
	v_sub_f16_e32 v11, v77, v73
	v_fma_f16 v87, -0.5, v48, v1
	v_add_f16_e32 v47, v82, v74
	v_add_f16_e32 v48, v41, v40
	s_delay_alu instid0(VALU_DEP_4) | instskip(SKIP_1) | instid1(VALU_DEP_3)
	v_add_f16_e32 v42, v11, v42
	v_add_f16_e32 v11, v76, v79
	v_fma_f16 v88, -0.5, v48, v1
	s_delay_alu instid0(VALU_DEP_2) | instskip(SKIP_2) | instid1(VALU_DEP_4)
	v_fma_f16 v11, -0.5, v11, v82
	v_fmac_f16_e32 v82, -0.5, v44
	v_sub_f16_e32 v44, v76, v74
	v_fmamk_f16 v92, v91, 0x3b9c, v88
	v_fmac_f16_e32 v88, 0xbb9c, v91
	s_delay_alu instid0(VALU_DEP_4) | instskip(NEXT) | instid1(VALU_DEP_4)
	v_fmamk_f16 v46, v83, 0xbb9c, v82
	v_add_f16_e32 v45, v44, v45
	v_fmamk_f16 v44, v84, 0x3b9c, v2
	v_fmac_f16_e32 v2, 0xbb9c, v84
	v_fmac_f16_e32 v82, 0x3b9c, v83
	;; [unrolled: 1-line block ×3, first 2 shown]
	s_delay_alu instid0(VALU_DEP_4) | instskip(NEXT) | instid1(VALU_DEP_4)
	v_fmac_f16_e32 v44, 0xb8b4, v85
	v_fmac_f16_e32 v2, 0x38b4, v85
	s_delay_alu instid0(VALU_DEP_4) | instskip(NEXT) | instid1(VALU_DEP_4)
	v_fmac_f16_e32 v82, 0xb8b4, v86
	v_fmac_f16_e32 v46, 0x34f2, v45
	;; [unrolled: 3-line block ×3, first 2 shown]
	s_delay_alu instid0(VALU_DEP_4) | instskip(SKIP_2) | instid1(VALU_DEP_3)
	v_fmac_f16_e32 v82, 0x34f2, v45
	v_sub_f16_e32 v45, v64, v75
	v_sub_f16_e32 v42, v69, v68
	v_pack_b32_f16 v48, v2, v82
	v_sub_f16_e32 v82, v40, v37
	v_lshrrev_b32_e32 v2, 16, v1
	v_add_f16_e32 v1, v1, v41
	s_delay_alu instid0(VALU_DEP_3) | instskip(SKIP_1) | instid1(VALU_DEP_3)
	v_add_f16_e32 v49, v49, v82
	v_sub_f16_e32 v82, v36, v41
	v_add_f16_e32 v1, v1, v36
	v_sub_f16_e32 v36, v36, v37
	s_delay_alu instid0(VALU_DEP_3) | instskip(SKIP_1) | instid1(VALU_DEP_4)
	v_add_f16_e32 v82, v82, v89
	v_sub_f16_e32 v89, v38, v10
	v_add_f16_e32 v1, v1, v37
	v_add_f16_e32 v37, v39, v9
	s_delay_alu instid0(VALU_DEP_3) | instskip(SKIP_1) | instid1(VALU_DEP_4)
	v_fmamk_f16 v90, v89, 0xbb9c, v87
	v_fmac_f16_e32 v87, 0x3b9c, v89
	v_add_f16_e32 v1, v1, v40
	v_sub_f16_e32 v40, v41, v40
	v_add_f16_e32 v41, v38, v10
	v_fmac_f16_e32 v90, 0xb8b4, v91
	v_fmac_f16_e32 v87, 0x38b4, v91
	v_fma_f16 v37, -0.5, v37, v2
	v_fmac_f16_e32 v88, 0x38b4, v89
	v_fmac_f16_e32 v92, 0xb8b4, v89
	v_fmac_f16_e32 v90, 0x34f2, v49
	v_fmac_f16_e32 v87, 0x34f2, v49
	v_add_f16_e32 v49, v2, v38
	v_fmac_f16_e32 v2, -0.5, v41
	v_fmac_f16_e32 v88, 0x34f2, v82
	v_fmac_f16_e32 v92, 0x34f2, v82
	s_delay_alu instid0(VALU_DEP_4) | instskip(SKIP_2) | instid1(VALU_DEP_3)
	v_add_f16_e32 v41, v49, v39
	v_sub_f16_e32 v49, v38, v39
	v_sub_f16_e32 v38, v39, v38
	v_add_f16_e32 v39, v41, v9
	v_sub_f16_e32 v41, v10, v9
	v_sub_f16_e32 v9, v9, v10
	s_delay_alu instid0(VALU_DEP_3) | instskip(NEXT) | instid1(VALU_DEP_3)
	v_add_f16_e32 v10, v39, v10
	v_add_f16_e32 v39, v49, v41
	s_delay_alu instid0(VALU_DEP_3)
	v_add_f16_e32 v9, v38, v9
	v_fmamk_f16 v38, v36, 0xbb9c, v2
	v_fmac_f16_e32 v2, 0x3b9c, v36
	v_fmamk_f16 v41, v40, 0x3b9c, v37
	v_fmac_f16_e32 v37, 0xbb9c, v40
	v_sub_f16_e32 v49, v60, v57
	v_fmac_f16_e32 v38, 0x38b4, v40
	v_fmac_f16_e32 v2, 0xb8b4, v40
	;; [unrolled: 1-line block ×4, first 2 shown]
	v_pack_b32_f16 v36, v1, v10
	v_fmac_f16_e32 v38, 0x34f2, v9
	v_fmac_f16_e32 v2, 0x34f2, v9
	;; [unrolled: 1-line block ×4, first 2 shown]
	v_add_f16_e32 v9, v47, v76
	v_pack_b32_f16 v38, v92, v38
	v_pack_b32_f16 v39, v88, v2
	v_add_f16_e32 v2, v43, v77
	v_pack_b32_f16 v1, v90, v41
	v_add_f16_e32 v9, v9, v79
	v_pack_b32_f16 v37, v87, v37
	v_sub_f16_e32 v47, v71, v70
	v_add_f16_e32 v2, v2, v78
	ds_store_b32 v98, v1 offset:1568
	v_add_f16_e32 v9, v9, v80
	v_add_f16_e32 v2, v2, v81
	s_delay_alu instid0(VALU_DEP_1)
	v_pack_b32_f16 v40, v2, v9
	ds_load_2addr_b32 v[1:2], v98 offset0:112 offset1:168
	ds_load_2addr_b32 v[9:10], v65 offset0:96 offset1:152
	ds_store_b32 v98, v38 offset:3136
	ds_store_b32 v98, v39 offset:4704
	;; [unrolled: 1-line block ×3, first 2 shown]
	ds_store_2addr_b32 v98, v36, v40 offset1:56
	v_sub_f16_e32 v36, v73, v77
	v_sub_f16_e32 v37, v81, v78
	;; [unrolled: 1-line block ×3, first 2 shown]
	v_fmamk_f16 v39, v85, 0xbb9c, v8
	v_fmac_f16_e32 v8, 0x3b9c, v85
	v_sub_f16_e32 v40, v72, v68
	v_add_f16_e32 v36, v36, v37
	v_sub_f16_e32 v37, v74, v76
	v_fmac_f16_e32 v39, 0xb8b4, v84
	v_fmac_f16_e32 v8, 0x38b4, v84
	s_delay_alu instid0(VALU_DEP_3)
	v_add_f16_e32 v37, v37, v38
	v_fmamk_f16 v38, v86, 0x3b9c, v11
	v_fmac_f16_e32 v11, 0xbb9c, v86
	v_fmac_f16_e32 v39, 0x34f2, v36
	v_fmac_f16_e32 v8, 0x34f2, v36
	v_sub_f16_e32 v36, v64, v71
	v_fmac_f16_e32 v38, 0x38b4, v83
	v_fmac_f16_e32 v11, 0xb8b4, v83
	s_waitcnt lgkmcnt(5)
	v_lshrrev_b32_e32 v43, 16, v1
	s_delay_alu instid0(VALU_DEP_3) | instskip(NEXT) | instid1(VALU_DEP_3)
	v_fmac_f16_e32 v38, 0x34f2, v37
	v_fmac_f16_e32 v11, 0x34f2, v37
	v_sub_f16_e32 v37, v75, v70
	s_delay_alu instid0(VALU_DEP_2) | instskip(NEXT) | instid1(VALU_DEP_2)
	v_pack_b32_f16 v8, v8, v11
	v_add_f16_e32 v36, v36, v37
	v_sub_f16_e32 v37, v67, v69
	v_pack_b32_f16 v11, v39, v38
	v_add_f16_e32 v38, v71, v70
	v_sub_f16_e32 v39, v67, v72
	s_delay_alu instid0(VALU_DEP_4) | instskip(SKIP_3) | instid1(VALU_DEP_2)
	v_add_f16_e32 v37, v37, v40
	v_pack_b32_f16 v40, v44, v46
	v_add_f16_e32 v44, v69, v68
	v_fma_f16 v38, -0.5, v38, v1
	v_fma_f16 v44, -0.5, v44, v43
	s_delay_alu instid0(VALU_DEP_2) | instskip(SKIP_1) | instid1(VALU_DEP_3)
	v_fmamk_f16 v41, v39, 0xbb9c, v38
	v_fmac_f16_e32 v38, 0x3b9c, v39
	v_fmamk_f16 v46, v45, 0x3b9c, v44
	s_delay_alu instid0(VALU_DEP_3) | instskip(NEXT) | instid1(VALU_DEP_3)
	v_fmac_f16_e32 v41, 0xb8b4, v42
	v_fmac_f16_e32 v38, 0x38b4, v42
	;; [unrolled: 1-line block ×3, first 2 shown]
	s_delay_alu instid0(VALU_DEP_4) | instskip(NEXT) | instid1(VALU_DEP_4)
	v_fmac_f16_e32 v46, 0x38b4, v47
	v_fmac_f16_e32 v41, 0x34f2, v36
	s_delay_alu instid0(VALU_DEP_4) | instskip(SKIP_3) | instid1(VALU_DEP_2)
	v_fmac_f16_e32 v38, 0x34f2, v36
	v_add_f16_e32 v36, v67, v72
	v_fmac_f16_e32 v44, 0xb8b4, v47
	v_fmac_f16_e32 v46, 0x34f2, v37
	;; [unrolled: 1-line block ×3, first 2 shown]
	s_delay_alu instid0(VALU_DEP_2)
	v_pack_b32_f16 v41, v41, v46
	ds_store_b32 v98, v40 offset:3360
	ds_store_b32 v98, v48 offset:4928
	;; [unrolled: 1-line block ×3, first 2 shown]
	ds_store_2addr_b32 v55, v11, v41 offset0:192 offset1:248
	v_add_f16_e32 v41, v64, v75
	v_add_f16_e32 v8, v1, v64
	v_sub_f16_e32 v11, v71, v64
	v_sub_f16_e32 v40, v70, v75
	v_add_f16_e32 v37, v2, v60
	v_fma_f16 v1, -0.5, v41, v1
	v_add_f16_e32 v41, v43, v67
	v_add_f16_e32 v8, v8, v71
	v_fmac_f16_e32 v43, -0.5, v36
	v_add_f16_e32 v11, v11, v40
	v_fmamk_f16 v40, v42, 0x3b9c, v1
	v_add_f16_e32 v36, v41, v69
	v_add_f16_e32 v8, v8, v70
	v_fmac_f16_e32 v1, 0xbb9c, v42
	v_sub_f16_e32 v41, v69, v67
	v_sub_f16_e32 v42, v68, v72
	v_add_f16_e32 v36, v36, v68
	v_add_f16_e32 v8, v8, v75
	v_fmamk_f16 v46, v47, 0xbb9c, v43
	v_fmac_f16_e32 v43, 0x3b9c, v47
	v_add_f16_e32 v41, v41, v42
	v_add_f16_e32 v36, v36, v72
	;; [unrolled: 1-line block ×3, first 2 shown]
	v_fmac_f16_e32 v1, 0x38b4, v39
	v_fmac_f16_e32 v43, 0xb8b4, v45
	v_sub_f16_e32 v47, v35, v63
	v_pack_b32_f16 v8, v8, v36
	v_pack_b32_f16 v36, v38, v44
	v_lshrrev_b32_e32 v38, 16, v2
	v_add_f16_e32 v37, v37, v63
	v_fmac_f16_e32 v1, 0x34f2, v11
	v_fmac_f16_e32 v43, 0x34f2, v41
	v_sub_f16_e32 v44, v58, v62
	v_add_f16_e32 v42, v38, v58
	v_add_f16_e32 v37, v37, v57
	v_fmac_f16_e32 v40, 0xb8b4, v39
	v_pack_b32_f16 v1, v1, v43
	v_fmac_f16_e32 v46, 0x38b4, v45
	v_add_f16_e32 v42, v42, v59
	v_sub_f16_e32 v39, v28, v30
	v_fmac_f16_e32 v40, 0x34f2, v11
	s_delay_alu instid0(VALU_DEP_4) | instskip(NEXT) | instid1(VALU_DEP_4)
	v_fmac_f16_e32 v46, 0x34f2, v41
	v_add_f16_e32 v42, v42, v61
	v_add_f16_e32 v41, v28, v30
	s_delay_alu instid0(VALU_DEP_2) | instskip(NEXT) | instid1(VALU_DEP_1)
	v_add_f16_e32 v42, v42, v62
	v_pack_b32_f16 v37, v37, v42
	ds_store_b32 v98, v1 offset:5152
	ds_store_b32 v98, v36 offset:6720
	ds_store_2addr_b32 v98, v8, v37 offset0:112 offset1:168
	v_add_f16_e32 v1, v35, v63
	v_add_f16_e32 v8, v60, v57
	v_sub_f16_e32 v36, v63, v57
	v_add_f16_e32 v37, v58, v62
	v_sub_f16_e32 v42, v61, v62
	v_fma_f16 v1, -0.5, v1, v2
	v_fmac_f16_e32 v2, -0.5, v8
	v_sub_f16_e32 v8, v35, v60
	s_delay_alu instid0(VALU_DEP_1) | instskip(SKIP_1) | instid1(VALU_DEP_1)
	v_add_f16_e32 v8, v8, v36
	v_add_f16_e32 v36, v59, v61
	v_fma_f16 v36, -0.5, v36, v38
	v_fmac_f16_e32 v38, -0.5, v37
	v_sub_f16_e32 v37, v59, v58
	s_delay_alu instid0(VALU_DEP_2) | instskip(NEXT) | instid1(VALU_DEP_2)
	v_fmamk_f16 v48, v47, 0xbb9c, v38
	v_add_f16_e32 v37, v37, v42
	v_sub_f16_e32 v42, v59, v61
	v_fmac_f16_e32 v38, 0x3b9c, v47
	s_delay_alu instid0(VALU_DEP_4) | instskip(NEXT) | instid1(VALU_DEP_3)
	v_fmac_f16_e32 v48, 0x38b4, v49
	v_fmamk_f16 v43, v42, 0x3b9c, v2
	v_fmac_f16_e32 v2, 0xbb9c, v42
	s_delay_alu instid0(VALU_DEP_4) | instskip(NEXT) | instid1(VALU_DEP_4)
	v_fmac_f16_e32 v38, 0xb8b4, v49
	v_fmac_f16_e32 v48, 0x34f2, v37
	s_delay_alu instid0(VALU_DEP_4) | instskip(NEXT) | instid1(VALU_DEP_4)
	v_fmac_f16_e32 v43, 0xb8b4, v44
	v_fmac_f16_e32 v2, 0x38b4, v44
	s_delay_alu instid0(VALU_DEP_4) | instskip(SKIP_1) | instid1(VALU_DEP_4)
	v_fmac_f16_e32 v38, 0x34f2, v37
	v_sub_f16_e32 v37, v62, v61
	v_fmac_f16_e32 v43, 0x34f2, v8
	s_delay_alu instid0(VALU_DEP_4)
	v_fmac_f16_e32 v2, 0x34f2, v8
	v_pack_b32_f16 v8, v40, v46
	s_waitcnt lgkmcnt(11)
	v_lshrrev_b32_e32 v40, 16, v9
	v_pack_b32_f16 v11, v43, v48
	v_pack_b32_f16 v2, v2, v38
	v_fmamk_f16 v38, v49, 0x3b9c, v36
	v_fmac_f16_e32 v36, 0xbb9c, v49
	v_fma_f16 v41, -0.5, v41, v40
	ds_store_2addr_b32 v53, v8, v11 offset0:128 offset1:184
	v_sub_f16_e32 v8, v60, v35
	v_sub_f16_e32 v11, v57, v63
	;; [unrolled: 1-line block ×3, first 2 shown]
	v_fmac_f16_e32 v38, 0x38b4, v47
	v_fmac_f16_e32 v36, 0xb8b4, v47
	s_delay_alu instid0(VALU_DEP_4)
	v_add_f16_e32 v8, v8, v11
	v_fmamk_f16 v11, v44, 0xbb9c, v1
	v_fmac_f16_e32 v1, 0x3b9c, v44
	v_add_f16_e32 v35, v35, v37
	v_sub_f16_e32 v37, v33, v30
	v_sub_f16_e32 v44, v31, v29
	v_fmac_f16_e32 v11, 0xb8b4, v42
	v_fmac_f16_e32 v1, 0x38b4, v42
	;; [unrolled: 1-line block ×4, first 2 shown]
	v_sub_f16_e32 v35, v34, v29
	v_fmac_f16_e32 v11, 0x34f2, v8
	v_fmac_f16_e32 v1, 0x34f2, v8
	v_sub_f16_e32 v8, v23, v31
	v_sub_f16_e32 v42, v23, v34
	s_delay_alu instid0(VALU_DEP_4) | instskip(NEXT) | instid1(VALU_DEP_4)
	v_pack_b32_f16 v11, v11, v38
	v_pack_b32_f16 v1, v1, v36
	s_delay_alu instid0(VALU_DEP_4) | instskip(SKIP_4) | instid1(VALU_DEP_4)
	v_add_f16_e32 v8, v8, v35
	v_sub_f16_e32 v35, v27, v28
	v_add_f16_e32 v36, v31, v29
	v_fmamk_f16 v43, v42, 0x3b9c, v41
	v_fmac_f16_e32 v41, 0xbb9c, v42
	v_add_f16_e32 v35, v35, v37
	s_delay_alu instid0(VALU_DEP_4) | instskip(SKIP_3) | instid1(VALU_DEP_3)
	v_fma_f16 v36, -0.5, v36, v9
	v_sub_f16_e32 v37, v27, v33
	v_fmac_f16_e32 v43, 0x38b4, v44
	v_fmac_f16_e32 v41, 0xb8b4, v44
	v_fmamk_f16 v38, v37, 0xbb9c, v36
	s_delay_alu instid0(VALU_DEP_3) | instskip(SKIP_1) | instid1(VALU_DEP_4)
	v_fmac_f16_e32 v43, 0x34f2, v35
	v_fmac_f16_e32 v36, 0x3b9c, v37
	;; [unrolled: 1-line block ×3, first 2 shown]
	s_delay_alu instid0(VALU_DEP_4) | instskip(NEXT) | instid1(VALU_DEP_3)
	v_fmac_f16_e32 v38, 0xb8b4, v39
	v_fmac_f16_e32 v36, 0x38b4, v39
	s_delay_alu instid0(VALU_DEP_2) | instskip(NEXT) | instid1(VALU_DEP_2)
	v_fmac_f16_e32 v38, 0x34f2, v8
	v_fmac_f16_e32 v36, 0x34f2, v8
	v_add_f16_e32 v8, v27, v33
	s_delay_alu instid0(VALU_DEP_3)
	v_pack_b32_f16 v38, v38, v43
	ds_store_b32 v98, v2 offset:5376
	ds_store_b32 v98, v1 offset:6944
	ds_store_2addr_b32 v66, v11, v38 offset0:48 offset1:104
	v_add_f16_e32 v1, v9, v23
	v_add_f16_e32 v2, v40, v27
	v_lshrrev_b32_e32 v11, 16, v10
	v_fmac_f16_e32 v40, -0.5, v8
	v_sub_f16_e32 v8, v28, v27
	v_add_f16_e32 v1, v1, v31
	v_add_f16_e32 v2, v2, v28
	;; [unrolled: 1-line block ×3, first 2 shown]
	v_fmamk_f16 v27, v44, 0xbb9c, v40
	v_fmac_f16_e32 v40, 0x3b9c, v44
	v_add_f16_e32 v1, v1, v29
	v_add_f16_e32 v2, v2, v30
	;; [unrolled: 1-line block ×3, first 2 shown]
	v_fmac_f16_e32 v27, 0x38b4, v42
	v_fmac_f16_e32 v40, 0xb8b4, v42
	v_add_f16_e32 v1, v1, v34
	v_add_f16_e32 v2, v2, v33
	v_add_f16_e32 v38, v38, v13
	v_add_f16_e32 v28, v6, v19
	v_lshrrev_b32_e32 v42, 16, v159
	s_delay_alu instid0(VALU_DEP_4) | instskip(SKIP_2) | instid1(VALU_DEP_2)
	v_pack_b32_f16 v1, v1, v2
	v_add_f16_e32 v2, v10, v12
	v_add_f16_e32 v38, v38, v19
	;; [unrolled: 1-line block ×3, first 2 shown]
	s_delay_alu instid0(VALU_DEP_1) | instskip(NEXT) | instid1(VALU_DEP_1)
	v_add_f16_e32 v2, v2, v15
	v_add_f16_e32 v2, v2, v5
	s_delay_alu instid0(VALU_DEP_1)
	v_pack_b32_f16 v2, v2, v38
	v_sub_f16_e32 v38, v25, v20
	ds_store_2addr_b32 v65, v1, v2 offset0:96 offset1:152
	v_add_f16_e32 v2, v23, v34
	v_sub_f16_e32 v1, v31, v23
	v_sub_f16_e32 v23, v29, v34
	;; [unrolled: 1-line block ×4, first 2 shown]
	v_fma_f16 v2, -0.5, v2, v9
	s_delay_alu instid0(VALU_DEP_4) | instskip(SKIP_2) | instid1(VALU_DEP_4)
	v_add_f16_e32 v1, v1, v23
	v_sub_f16_e32 v23, v30, v33
	v_sub_f16_e32 v33, v4, v15
	v_fmamk_f16 v9, v39, 0x3b9c, v2
	v_fmac_f16_e32 v2, 0xbb9c, v39
	v_sub_f16_e32 v30, v6, v19
	s_delay_alu instid0(VALU_DEP_3) | instskip(NEXT) | instid1(VALU_DEP_3)
	v_fmac_f16_e32 v9, 0xb8b4, v37
	v_fmac_f16_e32 v2, 0x38b4, v37
	v_sub_f16_e32 v37, v21, v32
	s_delay_alu instid0(VALU_DEP_3) | instskip(NEXT) | instid1(VALU_DEP_3)
	v_fmac_f16_e32 v9, 0x34f2, v1
	v_fmac_f16_e32 v2, 0x34f2, v1
	v_add_f16_e32 v1, v8, v23
	v_add_f16_e32 v8, v4, v15
	;; [unrolled: 1-line block ×3, first 2 shown]
	s_delay_alu instid0(VALU_DEP_3) | instskip(NEXT) | instid1(VALU_DEP_3)
	v_fmac_f16_e32 v27, 0x34f2, v1
	v_fma_f16 v8, -0.5, v8, v10
	s_delay_alu instid0(VALU_DEP_3)
	v_fmac_f16_e32 v10, -0.5, v23
	v_fmac_f16_e32 v40, 0x34f2, v1
	v_sub_f16_e32 v1, v4, v12
	v_sub_f16_e32 v23, v15, v5
	v_pack_b32_f16 v9, v9, v27
	v_sub_f16_e32 v27, v7, v13
	v_pack_b32_f16 v2, v2, v40
	v_sub_f16_e32 v40, v14, v26
	v_add_f16_e32 v1, v1, v23
	v_add_f16_e32 v23, v7, v13
	v_fmamk_f16 v31, v27, 0x3b9c, v10
	v_fmac_f16_e32 v10, 0xbb9c, v27
	s_delay_alu instid0(VALU_DEP_3) | instskip(SKIP_4) | instid1(VALU_DEP_4)
	v_fma_f16 v23, -0.5, v23, v11
	v_fmac_f16_e32 v11, -0.5, v28
	v_sub_f16_e32 v28, v7, v6
	v_fmac_f16_e32 v31, 0xb8b4, v30
	v_fmac_f16_e32 v10, 0x38b4, v30
	v_fmamk_f16 v35, v33, 0xbb9c, v11
	s_delay_alu instid0(VALU_DEP_4)
	v_add_f16_e32 v28, v28, v29
	v_fmac_f16_e32 v11, 0x3b9c, v33
	v_fmac_f16_e32 v31, 0x34f2, v1
	v_pack_b32_f16 v29, v36, v41
	v_fmac_f16_e32 v35, 0x38b4, v34
	v_fmac_f16_e32 v10, 0x34f2, v1
	;; [unrolled: 1-line block ×3, first 2 shown]
	v_lshrrev_b32_e32 v41, 16, v148
	s_delay_alu instid0(VALU_DEP_4) | instskip(NEXT) | instid1(VALU_DEP_3)
	v_fmac_f16_e32 v35, 0x34f2, v28
	v_fmac_f16_e32 v11, 0x34f2, v28
	v_sub_f16_e32 v28, v20, v26
	s_delay_alu instid0(VALU_DEP_3)
	v_pack_b32_f16 v31, v31, v35
	ds_store_b32 v98, v2 offset:5600
	ds_store_b32 v98, v29 offset:7168
	ds_store_2addr_b32 v3, v9, v31 offset0:112 offset1:168
	v_add_f16_e32 v2, v25, v20
	v_add_f16_e32 v9, v14, v26
	v_pack_b32_f16 v1, v10, v11
	v_lshrrev_b32_e32 v10, 16, v0
	v_add_f16_e32 v11, v0, v14
	v_fma_f16 v2, -0.5, v2, v0
	v_fmac_f16_e32 v0, -0.5, v9
	v_sub_f16_e32 v9, v25, v14
	v_add_f16_e32 v29, v21, v32
	v_add_f16_e32 v31, v10, v21
	v_sub_f16_e32 v35, v22, v32
	s_delay_alu instid0(VALU_DEP_4) | instskip(SKIP_1) | instid1(VALU_DEP_1)
	v_add_f16_e32 v9, v9, v28
	v_add_f16_e32 v28, v24, v22
	v_fma_f16 v28, -0.5, v28, v10
	v_fmac_f16_e32 v10, -0.5, v29
	v_sub_f16_e32 v29, v24, v21
	s_delay_alu instid0(VALU_DEP_2) | instskip(NEXT) | instid1(VALU_DEP_2)
	v_fmamk_f16 v39, v38, 0xbb9c, v10
	v_add_f16_e32 v29, v29, v35
	v_sub_f16_e32 v35, v24, v22
	v_fmac_f16_e32 v10, 0x3b9c, v38
	s_delay_alu instid0(VALU_DEP_4) | instskip(NEXT) | instid1(VALU_DEP_3)
	v_fmac_f16_e32 v39, 0x38b4, v40
	v_fmamk_f16 v36, v35, 0x3b9c, v0
	v_fmac_f16_e32 v0, 0xbb9c, v35
	s_delay_alu instid0(VALU_DEP_4) | instskip(NEXT) | instid1(VALU_DEP_4)
	v_fmac_f16_e32 v10, 0xb8b4, v40
	v_fmac_f16_e32 v39, 0x34f2, v29
	s_delay_alu instid0(VALU_DEP_4) | instskip(NEXT) | instid1(VALU_DEP_4)
	v_fmac_f16_e32 v36, 0xb8b4, v37
	v_fmac_f16_e32 v0, 0x38b4, v37
	s_delay_alu instid0(VALU_DEP_4) | instskip(NEXT) | instid1(VALU_DEP_3)
	v_fmac_f16_e32 v10, 0x34f2, v29
	v_fmac_f16_e32 v36, 0x34f2, v9
	s_delay_alu instid0(VALU_DEP_3) | instskip(NEXT) | instid1(VALU_DEP_1)
	v_fmac_f16_e32 v0, 0x34f2, v9
	v_pack_b32_f16 v10, v0, v10
	v_sub_f16_e32 v0, v12, v4
	v_sub_f16_e32 v4, v5, v15
	;; [unrolled: 1-line block ×4, first 2 shown]
	v_fmamk_f16 v7, v34, 0x3b9c, v23
	v_fmac_f16_e32 v23, 0xbb9c, v34
	v_add_f16_e32 v0, v0, v4
	v_fmamk_f16 v4, v30, 0xbb9c, v8
	v_fmac_f16_e32 v8, 0x3b9c, v30
	v_add_f16_e32 v5, v5, v6
	v_fmac_f16_e32 v7, 0x38b4, v33
	v_fmac_f16_e32 v23, 0xb8b4, v33
	;; [unrolled: 1-line block ×4, first 2 shown]
	v_sub_f16_e32 v6, v26, v20
	v_fmac_f16_e32 v7, 0x34f2, v5
	v_fmac_f16_e32 v23, 0x34f2, v5
	;; [unrolled: 1-line block ×4, first 2 shown]
	v_sub_f16_e32 v5, v14, v25
	v_add_f16_e32 v0, v11, v25
	v_add_f16_e32 v11, v31, v24
	v_sub_f16_e32 v12, v21, v24
	v_sub_f16_e32 v13, v32, v22
	v_add_f16_e32 v6, v5, v6
	v_pack_b32_f16 v5, v8, v23
	v_pack_b32_f16 v4, v4, v7
	v_fmamk_f16 v7, v37, 0xbb9c, v2
	v_fmamk_f16 v8, v40, 0x3b9c, v28
	v_add_f16_e32 v0, v0, v20
	v_add_f16_e32 v11, v11, v22
	;; [unrolled: 1-line block ×3, first 2 shown]
	v_fmac_f16_e32 v7, 0xb8b4, v35
	v_fmac_f16_e32 v8, 0x38b4, v38
	v_add_f16_e32 v0, v0, v26
	v_add_f16_e32 v11, v11, v32
	v_fmac_f16_e32 v28, 0xbb9c, v40
	v_fmac_f16_e32 v7, 0x34f2, v6
	;; [unrolled: 1-line block ×3, first 2 shown]
	v_lshrrev_b32_e32 v15, 16, v156
	v_pack_b32_f16 v0, v0, v11
	v_fmac_f16_e32 v28, 0xb8b4, v38
	v_lshrrev_b32_e32 v40, 16, v151
	v_pack_b32_f16 v7, v7, v8
	ds_store_b32 v98, v5 offset:7392
	ds_store_b32 v98, v1 offset:5824
	;; [unrolled: 1-line block ×3, first 2 shown]
	ds_store_2addr_b32 v66, v4, v7 offset0:160 offset1:216
	v_mad_u64_u32 v[0:1], null, s10, v54, 0
	v_fmac_f16_e32 v28, 0x34f2, v12
	s_delay_alu instid0(VALU_DEP_2) | instskip(SKIP_4) | instid1(VALU_DEP_2)
	v_mad_u64_u32 v[4:5], null, s11, v54, v[1:2]
	v_fmac_f16_e32 v2, 0x3b9c, v37
	v_pack_b32_f16 v1, v36, v39
	s_mov_b32 s10, 0xec259dc8
	s_mov_b32 s11, 0x3f40b7e6
	v_fmac_f16_e32 v2, 0x38b4, v35
	s_delay_alu instid0(VALU_DEP_1) | instskip(NEXT) | instid1(VALU_DEP_1)
	v_fmac_f16_e32 v2, 0x34f2, v6
	v_pack_b32_f16 v2, v2, v28
	ds_store_b32 v98, v1 offset:4480
	ds_store_b32 v98, v10 offset:6048
	;; [unrolled: 1-line block ×3, first 2 shown]
	s_waitcnt lgkmcnt(0)
	s_barrier
	buffer_gl0_inv
	ds_load_2addr_b32 v[26:27], v98 offset1:56
	s_waitcnt lgkmcnt(0)
	v_lshrrev_b32_e32 v12, 16, v26
	v_mul_f16_e32 v1, v15, v26
	s_delay_alu instid0(VALU_DEP_2) | instskip(NEXT) | instid1(VALU_DEP_2)
	v_mul_f16_e32 v35, v15, v12
	v_fma_f16 v1, v156, v12, -v1
	s_delay_alu instid0(VALU_DEP_2) | instskip(NEXT) | instid1(VALU_DEP_2)
	v_fmac_f16_e64 v35, v156, v26
	v_cvt_f32_f16_e32 v1, v1
	s_delay_alu instid0(VALU_DEP_1) | instskip(NEXT) | instid1(VALU_DEP_1)
	v_cvt_f64_f32_e32 v[1:2], v1
	v_mul_f64 v[9:10], v[1:2], s[10:11]
	s_delay_alu instid0(VALU_DEP_1) | instskip(SKIP_3) | instid1(VALU_DEP_4)
	v_and_or_b32 v1, 0x1ff, v10, v9
	v_lshrrev_b32_e32 v2, 8, v10
	v_bfe_u32 v22, v10, 20, 11
	v_lshrrev_b32_e32 v10, 16, v10
	v_cmp_ne_u32_e64 s0, 0, v1
	s_delay_alu instid0(VALU_DEP_1) | instskip(NEXT) | instid1(VALU_DEP_1)
	v_cndmask_b32_e64 v1, 0, 1, s0
	v_and_or_b32 v19, 0xffe, v2, v1
	v_sub_nc_u32_e32 v1, 0x3f1, v22
	v_add_nc_u32_e32 v22, 0xfffffc10, v22
	s_delay_alu instid0(VALU_DEP_3) | instskip(NEXT) | instid1(VALU_DEP_3)
	v_or_b32_e32 v2, 0x1000, v19
	v_med3_i32 v1, v1, 0, 13
	s_delay_alu instid0(VALU_DEP_1) | instskip(NEXT) | instid1(VALU_DEP_1)
	v_lshrrev_b32_e32 v24, v1, v2
	v_lshlrev_b32_e32 v1, v1, v24
	s_delay_alu instid0(VALU_DEP_1) | instskip(SKIP_2) | instid1(VALU_DEP_2)
	v_cmp_ne_u32_e64 s1, v1, v2
	v_mov_b32_e32 v1, v4
	v_mad_u64_u32 v[4:5], null, s8, v160, 0
	v_lshlrev_b64 v[0:1], 2, v[0:1]
	s_delay_alu instid0(VALU_DEP_2) | instskip(NEXT) | instid1(VALU_DEP_2)
	v_mov_b32_e32 v2, v5
	v_add_co_u32 v13, s0, s6, v0
	s_delay_alu instid0(VALU_DEP_1) | instskip(NEXT) | instid1(VALU_DEP_3)
	v_add_co_ci_u32_e64 v14, s0, s7, v1, s0
	v_mad_u64_u32 v[5:6], null, s9, v160, v[2:3]
	s_delay_alu instid0(VALU_DEP_1) | instskip(NEXT) | instid1(VALU_DEP_1)
	v_lshlrev_b64 v[0:1], 2, v[4:5]
	v_add_co_u32 v28, s0, v13, v0
	v_add_nc_u32_e32 v0, 0x600, v98
	s_delay_alu instid0(VALU_DEP_3) | instskip(SKIP_4) | instid1(VALU_DEP_1)
	v_add_co_ci_u32_e64 v29, s0, v14, v1, s0
	ds_load_2addr_b32 v[6:7], v0 offset0:106 offset1:162
	s_waitcnt lgkmcnt(0)
	v_lshrrev_b32_e32 v32, 16, v6
	v_mul_f16_e32 v0, v42, v6
	v_fma_f16 v0, v159, v32, -v0
	s_delay_alu instid0(VALU_DEP_1) | instskip(NEXT) | instid1(VALU_DEP_1)
	v_cvt_f32_f16_e32 v0, v0
	v_cvt_f64_f32_e32 v[0:1], v0
	s_delay_alu instid0(VALU_DEP_1) | instskip(NEXT) | instid1(VALU_DEP_1)
	v_mul_f64 v[30:31], v[0:1], s[10:11]
	v_and_or_b32 v0, 0x1ff, v31, v30
	v_lshrrev_b32_e32 v1, 8, v31
	v_bfe_u32 v33, v31, 20, 11
	s_delay_alu instid0(VALU_DEP_3) | instskip(NEXT) | instid1(VALU_DEP_1)
	v_cmp_ne_u32_e64 s0, 0, v0
	v_cndmask_b32_e64 v0, 0, 1, s0
	s_delay_alu instid0(VALU_DEP_1) | instskip(NEXT) | instid1(VALU_DEP_4)
	v_and_or_b32 v30, 0xffe, v1, v0
	v_sub_nc_u32_e32 v0, 0x3f1, v33
	s_delay_alu instid0(VALU_DEP_2) | instskip(NEXT) | instid1(VALU_DEP_2)
	v_or_b32_e32 v1, 0x1000, v30
	v_med3_i32 v0, v0, 0, 13
	s_delay_alu instid0(VALU_DEP_1) | instskip(NEXT) | instid1(VALU_DEP_1)
	v_lshrrev_b32_e32 v34, v0, v1
	v_lshlrev_b32_e32 v0, v0, v34
	s_delay_alu instid0(VALU_DEP_1) | instskip(SKIP_4) | instid1(VALU_DEP_1)
	v_cmp_ne_u32_e64 s3, v0, v1
	ds_load_2addr_b32 v[0:1], v3 offset0:84 offset1:140
	s_waitcnt lgkmcnt(0)
	v_lshrrev_b32_e32 v11, 16, v0
	v_mul_f16_e32 v2, v41, v0
	v_fma_f16 v2, v148, v11, -v2
	s_delay_alu instid0(VALU_DEP_1) | instskip(NEXT) | instid1(VALU_DEP_1)
	v_cvt_f32_f16_e32 v2, v2
	v_cvt_f64_f32_e32 v[2:3], v2
	s_delay_alu instid0(VALU_DEP_1) | instskip(NEXT) | instid1(VALU_DEP_1)
	v_mul_f64 v[8:9], v[2:3], s[10:11]
	v_and_or_b32 v2, 0x1ff, v9, v8
	v_lshrrev_b32_e32 v3, 8, v9
	v_bfe_u32 v23, v9, 20, 11
	v_lshrrev_b32_e32 v9, 16, v9
	s_delay_alu instid0(VALU_DEP_4) | instskip(NEXT) | instid1(VALU_DEP_1)
	v_cmp_ne_u32_e64 s0, 0, v2
	v_cndmask_b32_e64 v2, 0, 1, s0
	s_delay_alu instid0(VALU_DEP_1) | instskip(SKIP_2) | instid1(VALU_DEP_3)
	v_and_or_b32 v20, 0xffe, v3, v2
	v_sub_nc_u32_e32 v2, 0x3f1, v23
	v_add_nc_u32_e32 v23, 0xfffffc10, v23
	v_or_b32_e32 v3, 0x1000, v20
	s_delay_alu instid0(VALU_DEP_3) | instskip(NEXT) | instid1(VALU_DEP_1)
	v_med3_i32 v2, v2, 0, 13
	v_lshrrev_b32_e32 v25, v2, v3
	s_delay_alu instid0(VALU_DEP_1) | instskip(NEXT) | instid1(VALU_DEP_1)
	v_lshlrev_b32_e32 v2, v2, v25
	v_cmp_ne_u32_e64 s2, v2, v3
	v_lshrrev_b32_e32 v2, 16, v27
	v_lshrrev_b32_e32 v3, 16, v152
	s_delay_alu instid0(VALU_DEP_1) | instskip(SKIP_1) | instid1(VALU_DEP_2)
	v_mul_f16_e32 v8, v3, v2
	v_mul_f16_e32 v3, v3, v27
	v_fmac_f16_e64 v8, v152, v27
	s_delay_alu instid0(VALU_DEP_2) | instskip(SKIP_4) | instid1(VALU_DEP_1)
	v_fma_f16 v36, v152, v2, -v3
	ds_load_2addr_b32 v[2:3], v17 offset0:190 offset1:246
	s_waitcnt lgkmcnt(0)
	v_lshrrev_b32_e32 v21, 16, v2
	v_mul_f16_e32 v4, v40, v2
	v_fma_f16 v4, v151, v21, -v4
	s_delay_alu instid0(VALU_DEP_1) | instskip(NEXT) | instid1(VALU_DEP_1)
	v_cvt_f32_f16_e32 v4, v4
	v_cvt_f64_f32_e32 v[4:5], v4
	s_delay_alu instid0(VALU_DEP_1) | instskip(NEXT) | instid1(VALU_DEP_1)
	v_mul_f64 v[4:5], v[4:5], s[10:11]
	v_and_or_b32 v4, 0x1ff, v5, v4
	v_lshrrev_b32_e32 v12, 8, v5
	s_delay_alu instid0(VALU_DEP_2) | instskip(NEXT) | instid1(VALU_DEP_1)
	v_cmp_ne_u32_e64 s0, 0, v4
	v_cndmask_b32_e64 v4, 0, 1, s0
	s_delay_alu instid0(VALU_DEP_1) | instskip(SKIP_1) | instid1(VALU_DEP_2)
	v_and_or_b32 v4, 0xffe, v12, v4
	v_bfe_u32 v12, v5, 20, 11
	v_or_b32_e32 v27, 0x1000, v4
	s_delay_alu instid0(VALU_DEP_2) | instskip(SKIP_1) | instid1(VALU_DEP_2)
	v_sub_nc_u32_e32 v15, 0x3f1, v12
	v_add_nc_u32_e32 v12, 0xfffffc10, v12
	v_med3_i32 v26, v15, 0, 13
	s_delay_alu instid0(VALU_DEP_1) | instskip(NEXT) | instid1(VALU_DEP_1)
	v_lshrrev_b32_e32 v15, v26, v27
	v_lshlrev_b32_e32 v26, v26, v15
	s_delay_alu instid0(VALU_DEP_1) | instskip(SKIP_1) | instid1(VALU_DEP_1)
	v_cmp_ne_u32_e64 s0, v26, v27
	v_cvt_f32_f16_e32 v26, v35
	v_cvt_f64_f32_e32 v[26:27], v26
	s_delay_alu instid0(VALU_DEP_1) | instskip(NEXT) | instid1(VALU_DEP_1)
	v_mul_f64 v[26:27], v[26:27], s[10:11]
	v_and_or_b32 v26, 0x1ff, v27, v26
	v_lshrrev_b32_e32 v35, 8, v27
	s_delay_alu instid0(VALU_DEP_2) | instskip(NEXT) | instid1(VALU_DEP_1)
	v_cmp_ne_u32_e64 s4, 0, v26
	v_cndmask_b32_e64 v26, 0, 1, s4
	s_delay_alu instid0(VALU_DEP_1) | instskip(SKIP_2) | instid1(VALU_DEP_3)
	v_and_or_b32 v26, 0xffe, v35, v26
	v_bfe_u32 v35, v27, 20, 11
	v_lshrrev_b32_e32 v27, 16, v27
	v_or_b32_e32 v38, 0x1000, v26
	s_delay_alu instid0(VALU_DEP_3) | instskip(SKIP_2) | instid1(VALU_DEP_3)
	v_sub_nc_u32_e32 v37, 0x3f1, v35
	v_add_nc_u32_e32 v35, 0xfffffc10, v35
	v_cmp_ne_u32_e64 s5, 0, v26
	v_med3_i32 v37, v37, 0, 13
	s_delay_alu instid0(VALU_DEP_1) | instskip(NEXT) | instid1(VALU_DEP_1)
	v_lshrrev_b32_e32 v39, v37, v38
	v_lshlrev_b32_e32 v37, v37, v39
	s_delay_alu instid0(VALU_DEP_1) | instskip(SKIP_1) | instid1(VALU_DEP_2)
	v_cmp_ne_u32_e64 s4, v37, v38
	v_lshl_or_b32 v38, v35, 12, v26
	v_cndmask_b32_e64 v37, 0, 1, s4
	v_cmp_gt_i32_e64 s4, 1, v35
	s_delay_alu instid0(VALU_DEP_2) | instskip(NEXT) | instid1(VALU_DEP_1)
	v_or_b32_e32 v37, v39, v37
	v_cndmask_b32_e64 v37, v38, v37, s4
	v_cndmask_b32_e64 v38, 0, 1, s1
	v_cmp_gt_i32_e64 s1, 1, v22
	s_delay_alu instid0(VALU_DEP_2) | instskip(SKIP_1) | instid1(VALU_DEP_1)
	v_or_b32_e32 v24, v24, v38
	v_lshl_or_b32 v38, v22, 12, v19
	v_cndmask_b32_e64 v24, v38, v24, s1
	v_and_b32_e32 v38, 7, v37
	s_delay_alu instid0(VALU_DEP_2) | instskip(NEXT) | instid1(VALU_DEP_2)
	v_and_b32_e32 v26, 7, v24
	v_cmp_lt_i32_e64 s1, 5, v38
	v_cmp_eq_u32_e64 s4, 3, v38
	scratch_load_b32 v38, off, off offset:124 ; 4-byte Folded Reload
	v_cmp_lt_i32_e64 s6, 5, v26
	v_cmp_eq_u32_e64 s7, 3, v26
	v_lshrrev_b32_e32 v26, 2, v37
	s_or_b32 s1, s4, s1
	v_cndmask_b32_e64 v37, 0, 1, s5
	s_delay_alu instid0(VALU_DEP_3) | instskip(NEXT) | instid1(VALU_DEP_2)
	s_or_b32 s4, s7, s6
	v_add_co_ci_u32_e64 v26, s1, 0, v26, s1
	v_cmp_gt_i32_e64 s1, 31, v35
	s_delay_alu instid0(VALU_DEP_3) | instskip(NEXT) | instid1(VALU_DEP_2)
	v_lshl_or_b32 v37, v37, 9, 0x7c00
	v_cndmask_b32_e64 v26, 0x7c00, v26, s1
	v_cmp_eq_u32_e64 s1, 0x40f, v35
	v_lshrrev_b32_e32 v35, 16, v132
	s_delay_alu instid0(VALU_DEP_2)
	v_cndmask_b32_e64 v26, v26, v37, s1
	v_cmp_ne_u32_e64 s1, 0, v19
	v_lshrrev_b32_e32 v19, 2, v24
	scratch_load_b32 v37, off, off offset:104 ; 4-byte Folded Reload
	v_cndmask_b32_e64 v24, 0, 1, s1
	v_add_co_ci_u32_e64 v19, s4, 0, v19, s4
	v_cmp_gt_i32_e64 s4, 31, v22
	v_cmp_eq_u32_e64 s1, 0x40f, v22
	s_delay_alu instid0(VALU_DEP_4) | instskip(SKIP_1) | instid1(VALU_DEP_4)
	v_lshl_or_b32 v24, v24, 9, 0x7c00
	v_and_or_b32 v22, 0x8000, v27, v26
	v_cndmask_b32_e64 v19, 0x7c00, v19, s4
	s_mul_hi_u32 s4, s8, 0x1ea
	s_delay_alu instid0(VALU_DEP_1) | instskip(SKIP_1) | instid1(SALU_CYCLE_1)
	v_cndmask_b32_e64 v19, v19, v24, s1
	s_mul_i32 s1, s9, 0x1ea
	s_add_i32 s5, s4, s1
	s_mul_i32 s4, s8, 0x1ea
	s_delay_alu instid0(VALU_DEP_1) | instskip(SKIP_2) | instid1(SALU_CYCLE_1)
	v_and_or_b32 v10, 0x8000, v10, v19
	v_and_b32_e32 v19, 0xffff, v22
	s_lshl_b64 s[12:13], s[4:5], 2
	v_add_co_u32 v26, s1, v28, s12
	s_delay_alu instid0(VALU_DEP_2) | instskip(SKIP_3) | instid1(VALU_DEP_1)
	v_lshl_or_b32 v10, v10, 16, v19
	v_add_co_ci_u32_e64 v27, s1, s13, v29, s1
	global_store_b32 v[28:29], v10, off
	v_mul_f16_e32 v10, v42, v32
	v_fmac_f16_e64 v10, v159, v6
	s_delay_alu instid0(VALU_DEP_1) | instskip(NEXT) | instid1(VALU_DEP_1)
	v_cvt_f32_f16_e32 v6, v10
	v_cvt_f64_f32_e32 v[28:29], v6
	s_delay_alu instid0(VALU_DEP_1) | instskip(NEXT) | instid1(VALU_DEP_1)
	v_mul_f64 v[28:29], v[28:29], s[10:11]
	v_and_or_b32 v6, 0x1ff, v29, v28
	v_lshrrev_b32_e32 v10, 8, v29
	s_delay_alu instid0(VALU_DEP_2) | instskip(NEXT) | instid1(VALU_DEP_1)
	v_cmp_ne_u32_e64 s1, 0, v6
	v_cndmask_b32_e64 v6, 0, 1, s1
	s_delay_alu instid0(VALU_DEP_1) | instskip(SKIP_1) | instid1(VALU_DEP_2)
	v_and_or_b32 v6, 0xffe, v10, v6
	v_bfe_u32 v10, v29, 20, 11
	v_or_b32_e32 v22, 0x1000, v6
	s_delay_alu instid0(VALU_DEP_2) | instskip(SKIP_2) | instid1(VALU_DEP_3)
	v_sub_nc_u32_e32 v19, 0x3f1, v10
	v_add_nc_u32_e32 v10, 0xfffffc10, v10
	v_cmp_ne_u32_e64 s5, 0, v6
	v_med3_i32 v19, v19, 0, 13
	s_delay_alu instid0(VALU_DEP_1) | instskip(NEXT) | instid1(VALU_DEP_1)
	v_lshrrev_b32_e32 v24, v19, v22
	v_lshlrev_b32_e32 v19, v19, v24
	s_delay_alu instid0(VALU_DEP_1) | instskip(SKIP_2) | instid1(VALU_DEP_3)
	v_cmp_ne_u32_e64 s1, v19, v22
	v_lshl_or_b32 v22, v10, 12, v6
	v_cndmask_b32_e64 v6, 0, 1, s3
	v_cndmask_b32_e64 v19, 0, 1, s1
	v_cmp_gt_i32_e64 s1, 1, v10
	s_delay_alu instid0(VALU_DEP_3) | instskip(NEXT) | instid1(VALU_DEP_3)
	v_or_b32_e32 v6, v34, v6
	v_or_b32_e32 v19, v24, v19
	s_delay_alu instid0(VALU_DEP_1) | instskip(NEXT) | instid1(VALU_DEP_1)
	v_cndmask_b32_e64 v19, v22, v19, s1
	v_and_b32_e32 v22, 7, v19
	v_lshrrev_b32_e32 v19, 2, v19
	s_delay_alu instid0(VALU_DEP_2) | instskip(SKIP_3) | instid1(VALU_DEP_3)
	v_cmp_lt_i32_e64 s1, 5, v22
	v_cmp_eq_u32_e64 s4, 3, v22
	v_add_nc_u32_e32 v22, 0xfffffc10, v33
	v_lshrrev_b32_e32 v33, 16, v141
	s_or_b32 s1, s4, s1
	s_delay_alu instid0(VALU_DEP_2) | instskip(SKIP_4) | instid1(VALU_DEP_4)
	v_lshl_or_b32 v24, v22, 12, v30
	v_cmp_gt_i32_e64 s3, 1, v22
	v_add_co_ci_u32_e64 v19, s1, 0, v19, s1
	v_cmp_gt_i32_e64 s1, 31, v10
	v_cmp_ne_u32_e64 s4, 0, v30
	v_cndmask_b32_e64 v6, v24, v6, s3
	v_cndmask_b32_e64 v24, 0, 1, s5
	s_delay_alu instid0(VALU_DEP_4) | instskip(SKIP_1) | instid1(VALU_DEP_3)
	v_cndmask_b32_e64 v19, 0x7c00, v19, s1
	v_cmp_eq_u32_e64 s1, 0x40f, v10
	v_lshl_or_b32 v24, v24, 9, 0x7c00
	s_delay_alu instid0(VALU_DEP_1) | instskip(SKIP_3) | instid1(VALU_DEP_3)
	v_cndmask_b32_e64 v10, v19, v24, s1
	v_and_b32_e32 v24, 7, v6
	v_lshrrev_b32_e32 v6, 2, v6
	v_lshrrev_b32_e32 v19, 16, v29
	v_cmp_lt_i32_e64 s1, 5, v24
	v_cmp_eq_u32_e64 s3, 3, v24
	v_cndmask_b32_e64 v24, 0, 1, s4
	s_delay_alu instid0(VALU_DEP_4) | instskip(SKIP_1) | instid1(VALU_DEP_4)
	v_and_or_b32 v10, 0x8000, v19, v10
	v_lshrrev_b32_e32 v19, 16, v153
	s_or_b32 s1, s3, s1
	s_delay_alu instid0(VALU_DEP_3) | instskip(SKIP_3) | instid1(VALU_DEP_2)
	v_lshl_or_b32 v24, v24, 9, 0x7c00
	v_add_co_ci_u32_e64 v6, s1, 0, v6, s1
	v_cmp_gt_i32_e64 s1, 31, v22
	v_and_b32_e32 v10, 0xffff, v10
	v_cndmask_b32_e64 v6, 0x7c00, v6, s1
	v_cmp_eq_u32_e64 s1, 0x40f, v22
	v_lshrrev_b32_e32 v22, 16, v31
	v_lshrrev_b32_e32 v31, 16, v140
	s_delay_alu instid0(VALU_DEP_3) | instskip(NEXT) | instid1(VALU_DEP_1)
	v_cndmask_b32_e64 v6, v6, v24, s1
	v_and_or_b32 v6, 0x8000, v22, v6
	s_delay_alu instid0(VALU_DEP_1) | instskip(SKIP_3) | instid1(VALU_DEP_1)
	v_lshl_or_b32 v6, v6, 16, v10
	global_store_b32 v[26:27], v6, off
	v_lshrrev_b32_e32 v6, 16, v7
	v_add_co_u32 v26, s1, v26, s12
	v_add_co_ci_u32_e64 v27, s1, s13, v27, s1
	s_delay_alu instid0(VALU_DEP_3) | instskip(SKIP_1) | instid1(VALU_DEP_2)
	v_mul_f16_e32 v10, v19, v6
	v_mul_f16_e32 v19, v19, v7
	v_fmac_f16_e64 v10, v153, v7
	s_delay_alu instid0(VALU_DEP_2) | instskip(SKIP_1) | instid1(VALU_DEP_1)
	v_fma_f16 v19, v153, v6, -v19
	v_mul_f16_e32 v6, v41, v11
	v_fmac_f16_e64 v6, v148, v0
	s_delay_alu instid0(VALU_DEP_1) | instskip(NEXT) | instid1(VALU_DEP_1)
	v_cvt_f32_f16_e32 v0, v6
	v_cvt_f64_f32_e32 v[6:7], v0
	s_delay_alu instid0(VALU_DEP_1) | instskip(NEXT) | instid1(VALU_DEP_1)
	v_mul_f64 v[6:7], v[6:7], s[10:11]
	v_and_or_b32 v0, 0x1ff, v7, v6
	v_lshrrev_b32_e32 v6, 8, v7
	s_delay_alu instid0(VALU_DEP_2) | instskip(NEXT) | instid1(VALU_DEP_1)
	v_cmp_ne_u32_e64 s1, 0, v0
	v_cndmask_b32_e64 v0, 0, 1, s1
	s_delay_alu instid0(VALU_DEP_1) | instskip(SKIP_1) | instid1(VALU_DEP_2)
	v_and_or_b32 v0, 0xffe, v6, v0
	v_bfe_u32 v6, v7, 20, 11
	v_or_b32_e32 v22, 0x1000, v0
	s_delay_alu instid0(VALU_DEP_2) | instskip(SKIP_2) | instid1(VALU_DEP_3)
	v_sub_nc_u32_e32 v11, 0x3f1, v6
	v_add_nc_u32_e32 v6, 0xfffffc10, v6
	v_cmp_ne_u32_e64 s3, 0, v0
	v_med3_i32 v11, v11, 0, 13
	s_delay_alu instid0(VALU_DEP_1) | instskip(NEXT) | instid1(VALU_DEP_1)
	v_lshrrev_b32_e32 v24, v11, v22
	v_lshlrev_b32_e32 v11, v11, v24
	s_delay_alu instid0(VALU_DEP_1) | instskip(SKIP_1) | instid1(VALU_DEP_2)
	v_cmp_ne_u32_e64 s1, v11, v22
	v_lshl_or_b32 v22, v6, 12, v0
	v_cndmask_b32_e64 v11, 0, 1, s1
	v_cmp_gt_i32_e64 s1, 1, v6
	s_delay_alu instid0(VALU_DEP_2) | instskip(SKIP_1) | instid1(VALU_DEP_2)
	v_or_b32_e32 v11, v24, v11
	v_lshl_or_b32 v24, v23, 12, v20
	v_cndmask_b32_e64 v11, v22, v11, s1
	v_cndmask_b32_e64 v22, 0, 1, s2
	v_cmp_gt_i32_e64 s1, 1, v23
	s_delay_alu instid0(VALU_DEP_2) | instskip(NEXT) | instid1(VALU_DEP_1)
	v_or_b32_e32 v22, v25, v22
	v_cndmask_b32_e64 v22, v24, v22, s1
	v_and_b32_e32 v24, 7, v11
	s_delay_alu instid0(VALU_DEP_2) | instskip(NEXT) | instid1(VALU_DEP_2)
	v_and_b32_e32 v0, 7, v22
	v_cmp_lt_i32_e64 s1, 5, v24
	v_cmp_eq_u32_e64 s2, 3, v24
	s_delay_alu instid0(VALU_DEP_3) | instskip(SKIP_2) | instid1(VALU_DEP_4)
	v_cmp_lt_i32_e64 s4, 5, v0
	v_cmp_eq_u32_e64 s5, 3, v0
	v_lshrrev_b32_e32 v0, 2, v11
	s_or_b32 s1, s2, s1
	v_cndmask_b32_e64 v11, 0, 1, s3
	s_delay_alu instid0(VALU_DEP_3) | instskip(NEXT) | instid1(VALU_DEP_2)
	s_or_b32 s2, s5, s4
	v_add_co_ci_u32_e64 v0, s1, 0, v0, s1
	v_cmp_gt_i32_e64 s1, 31, v6
	s_delay_alu instid0(VALU_DEP_3) | instskip(NEXT) | instid1(VALU_DEP_2)
	v_lshl_or_b32 v11, v11, 9, 0x7c00
	v_cndmask_b32_e64 v0, 0x7c00, v0, s1
	v_cmp_eq_u32_e64 s1, 0x40f, v6
	v_lshrrev_b32_e32 v6, 16, v7
	v_lshrrev_b32_e32 v7, 2, v22
	s_delay_alu instid0(VALU_DEP_3) | instskip(SKIP_1) | instid1(VALU_DEP_3)
	v_cndmask_b32_e64 v0, v0, v11, s1
	v_cmp_ne_u32_e64 s1, 0, v20
	v_add_co_ci_u32_e64 v7, s2, 0, v7, s2
	v_cmp_gt_i32_e64 s2, 31, v23
	s_delay_alu instid0(VALU_DEP_4) | instskip(NEXT) | instid1(VALU_DEP_4)
	v_and_or_b32 v0, 0x8000, v6, v0
	v_cndmask_b32_e64 v11, 0, 1, s1
	v_cmp_eq_u32_e64 s1, 0x40f, v23
	s_delay_alu instid0(VALU_DEP_4) | instskip(NEXT) | instid1(VALU_DEP_4)
	v_cndmask_b32_e64 v7, 0x7c00, v7, s2
	v_and_b32_e32 v0, 0xffff, v0
	s_delay_alu instid0(VALU_DEP_4) | instskip(NEXT) | instid1(VALU_DEP_1)
	v_lshl_or_b32 v11, v11, 9, 0x7c00
	v_cndmask_b32_e64 v7, v7, v11, s1
	v_add_co_u32 v22, s1, v26, s12
	s_delay_alu instid0(VALU_DEP_1) | instskip(NEXT) | instid1(VALU_DEP_3)
	v_add_co_ci_u32_e64 v23, s1, s13, v27, s1
	v_and_or_b32 v6, 0x8000, v9, v7
	v_lshrrev_b32_e32 v11, 16, v150
	s_delay_alu instid0(VALU_DEP_2) | instskip(SKIP_3) | instid1(VALU_DEP_2)
	v_lshl_or_b32 v0, v6, 16, v0
	global_store_b32 v[26:27], v0, off
	v_cvt_f32_f16_e32 v0, v36
	v_lshrrev_b32_e32 v36, 16, v136
	v_cvt_f64_f32_e32 v[6:7], v0
	s_delay_alu instid0(VALU_DEP_1) | instskip(NEXT) | instid1(VALU_DEP_1)
	v_mul_f64 v[6:7], v[6:7], s[10:11]
	v_and_or_b32 v0, 0x1ff, v7, v6
	v_lshrrev_b32_e32 v6, 8, v7
	v_bfe_u32 v20, v7, 20, 11
	s_delay_alu instid0(VALU_DEP_3) | instskip(NEXT) | instid1(VALU_DEP_1)
	v_cmp_ne_u32_e64 s1, 0, v0
	v_cndmask_b32_e64 v0, 0, 1, s1
	s_delay_alu instid0(VALU_DEP_1) | instskip(NEXT) | instid1(VALU_DEP_4)
	v_and_or_b32 v6, 0xffe, v6, v0
	v_sub_nc_u32_e32 v0, 0x3f1, v20
	s_delay_alu instid0(VALU_DEP_2) | instskip(NEXT) | instid1(VALU_DEP_2)
	v_or_b32_e32 v9, 0x1000, v6
	v_med3_i32 v0, v0, 0, 13
	s_delay_alu instid0(VALU_DEP_1) | instskip(NEXT) | instid1(VALU_DEP_1)
	v_lshrrev_b32_e32 v24, v0, v9
	v_lshlrev_b32_e32 v0, v0, v24
	s_delay_alu instid0(VALU_DEP_1) | instskip(SKIP_1) | instid1(VALU_DEP_1)
	v_cmp_ne_u32_e64 s2, v0, v9
	v_lshrrev_b32_e32 v9, 16, v1
	v_mul_f16_e32 v0, v11, v9
	v_mul_f16_e32 v11, v11, v1
	s_delay_alu instid0(VALU_DEP_2) | instskip(SKIP_1) | instid1(VALU_DEP_3)
	v_fmac_f16_e64 v0, v150, v1
	v_mul_f16_e32 v1, v40, v21
	v_fma_f16 v11, v150, v9, -v11
	s_delay_alu instid0(VALU_DEP_3) | instskip(NEXT) | instid1(VALU_DEP_3)
	v_cvt_f32_f16_e32 v0, v0
	v_fmac_f16_e64 v1, v151, v2
	s_delay_alu instid0(VALU_DEP_1) | instskip(NEXT) | instid1(VALU_DEP_1)
	v_cvt_f32_f16_e32 v1, v1
	v_cvt_f64_f32_e32 v[1:2], v1
	s_delay_alu instid0(VALU_DEP_1) | instskip(NEXT) | instid1(VALU_DEP_1)
	v_mul_f64 v[1:2], v[1:2], s[10:11]
	v_and_or_b32 v1, 0x1ff, v2, v1
	v_lshrrev_b32_e32 v9, 8, v2
	s_delay_alu instid0(VALU_DEP_2) | instskip(NEXT) | instid1(VALU_DEP_1)
	v_cmp_ne_u32_e64 s1, 0, v1
	v_cndmask_b32_e64 v1, 0, 1, s1
	s_delay_alu instid0(VALU_DEP_1) | instskip(SKIP_2) | instid1(VALU_DEP_3)
	v_and_or_b32 v1, 0xffe, v9, v1
	v_bfe_u32 v9, v2, 20, 11
	v_lshrrev_b32_e32 v2, 16, v2
	v_or_b32_e32 v25, 0x1000, v1
	s_delay_alu instid0(VALU_DEP_3) | instskip(SKIP_2) | instid1(VALU_DEP_3)
	v_sub_nc_u32_e32 v21, 0x3f1, v9
	v_add_nc_u32_e32 v9, 0xfffffc10, v9
	v_cmp_ne_u32_e64 s4, 0, v1
	v_med3_i32 v21, v21, 0, 13
	s_delay_alu instid0(VALU_DEP_1) | instskip(NEXT) | instid1(VALU_DEP_1)
	v_lshrrev_b32_e32 v26, v21, v25
	v_lshlrev_b32_e32 v21, v21, v26
	s_delay_alu instid0(VALU_DEP_1) | instskip(SKIP_3) | instid1(VALU_DEP_4)
	v_cmp_ne_u32_e64 s1, v21, v25
	v_lshl_or_b32 v25, v9, 12, v1
	v_cndmask_b32_e64 v1, 0, 1, s0
	v_cmp_gt_i32_e64 s0, 1, v12
	v_cndmask_b32_e64 v21, 0, 1, s1
	v_cmp_gt_i32_e64 s1, 1, v9
	s_delay_alu instid0(VALU_DEP_4) | instskip(SKIP_1) | instid1(VALU_DEP_4)
	v_or_b32_e32 v1, v15, v1
	v_lshl_or_b32 v15, v12, 12, v4
	v_or_b32_e32 v21, v26, v21
	s_delay_alu instid0(VALU_DEP_2) | instskip(NEXT) | instid1(VALU_DEP_2)
	v_cndmask_b32_e64 v1, v15, v1, s0
	v_cndmask_b32_e64 v21, v25, v21, s1
	s_delay_alu instid0(VALU_DEP_1) | instskip(SKIP_2) | instid1(VALU_DEP_3)
	v_and_b32_e32 v25, 7, v21
	v_lshrrev_b32_e32 v15, 2, v21
	v_cndmask_b32_e64 v21, 0, 1, s4
	v_cmp_lt_i32_e64 s1, 5, v25
	v_cmp_eq_u32_e64 s3, 3, v25
	s_delay_alu instid0(VALU_DEP_3) | instskip(NEXT) | instid1(VALU_DEP_2)
	v_lshl_or_b32 v21, v21, 9, 0x7c00
	s_or_b32 s0, s3, s1
	v_cmp_ne_u32_e64 s3, 0, v4
	v_add_co_ci_u32_e64 v15, s0, 0, v15, s0
	v_cmp_gt_i32_e64 s0, 31, v9
	s_delay_alu instid0(VALU_DEP_3) | instskip(NEXT) | instid1(VALU_DEP_2)
	v_cndmask_b32_e64 v4, 0, 1, s3
	v_cndmask_b32_e64 v15, 0x7c00, v15, s0
	v_cmp_eq_u32_e64 s0, 0x40f, v9
	s_delay_alu instid0(VALU_DEP_3) | instskip(NEXT) | instid1(VALU_DEP_2)
	v_lshl_or_b32 v4, v4, 9, 0x7c00
	v_cndmask_b32_e64 v9, v15, v21, s0
	v_and_b32_e32 v15, 7, v1
	v_lshrrev_b32_e32 v1, 2, v1
	s_delay_alu instid0(VALU_DEP_3) | instskip(NEXT) | instid1(VALU_DEP_3)
	v_and_or_b32 v2, 0x8000, v2, v9
	v_cmp_lt_i32_e64 s0, 5, v15
	v_cmp_eq_u32_e64 s1, 3, v15
	s_delay_alu instid0(VALU_DEP_3) | instskip(NEXT) | instid1(VALU_DEP_2)
	v_and_b32_e32 v2, 0xffff, v2
	s_or_b32 s0, s1, s0
	s_mul_i32 s1, s9, 0xffffe9e8
	v_add_co_ci_u32_e64 v1, s0, 0, v1, s0
	v_cmp_gt_i32_e64 s0, 31, v12
	s_delay_alu instid0(VALU_DEP_1) | instskip(SKIP_1) | instid1(VALU_DEP_1)
	v_cndmask_b32_e64 v1, 0x7c00, v1, s0
	v_cmp_eq_u32_e64 s0, 0x40f, v12
	v_cndmask_b32_e64 v1, v1, v4, s0
	v_lshrrev_b32_e32 v4, 16, v5
	s_mul_hi_u32 s0, s8, 0xffffe9e8
	s_delay_alu instid0(SALU_CYCLE_1) | instskip(NEXT) | instid1(VALU_DEP_1)
	s_sub_i32 s14, s0, s8
	v_and_or_b32 v1, 0x8000, v4, v1
	v_cvt_f32_f16_e32 v4, v19
	s_add_i32 s14, s14, s1
	s_delay_alu instid0(VALU_DEP_2) | instskip(NEXT) | instid1(VALU_DEP_2)
	v_lshl_or_b32 v1, v1, 16, v2
	v_cvt_f64_f32_e32 v[4:5], v4
	global_store_b32 v[22:23], v1, off
	v_add_co_u32 v1, s0, v22, s15
	s_delay_alu instid0(VALU_DEP_1) | instskip(SKIP_1) | instid1(VALU_DEP_1)
	v_add_co_ci_u32_e64 v2, s0, s14, v23, s0
	v_mul_f64 v[21:22], v[4:5], s[10:11]
	v_and_or_b32 v4, 0x1ff, v22, v21
	v_lshrrev_b32_e32 v5, 8, v22
	v_bfe_u32 v21, v22, 20, 11
	s_delay_alu instid0(VALU_DEP_3) | instskip(NEXT) | instid1(VALU_DEP_1)
	v_cmp_ne_u32_e64 s0, 0, v4
	v_cndmask_b32_e64 v4, 0, 1, s0
	s_delay_alu instid0(VALU_DEP_1) | instskip(NEXT) | instid1(VALU_DEP_4)
	v_and_or_b32 v15, 0xffe, v5, v4
	v_sub_nc_u32_e32 v4, 0x3f1, v21
	s_delay_alu instid0(VALU_DEP_2) | instskip(NEXT) | instid1(VALU_DEP_2)
	v_or_b32_e32 v5, 0x1000, v15
	v_med3_i32 v4, v4, 0, 13
	s_delay_alu instid0(VALU_DEP_1) | instskip(NEXT) | instid1(VALU_DEP_1)
	v_lshrrev_b32_e32 v23, v4, v5
	v_lshlrev_b32_e32 v4, v4, v23
	s_delay_alu instid0(VALU_DEP_1) | instskip(SKIP_2) | instid1(VALU_DEP_1)
	v_cmp_ne_u32_e64 s0, v4, v5
	v_lshrrev_b32_e32 v4, 16, v3
	v_lshrrev_b32_e32 v5, 16, v147
	v_mul_f16_e32 v9, v5, v4
	v_mul_f16_e32 v5, v5, v3
	s_delay_alu instid0(VALU_DEP_2) | instskip(SKIP_1) | instid1(VALU_DEP_3)
	v_fmac_f16_e64 v9, v147, v3
	v_cvt_f32_f16_e32 v3, v11
	v_fma_f16 v25, v147, v4, -v5
	s_delay_alu instid0(VALU_DEP_3) | instskip(NEXT) | instid1(VALU_DEP_3)
	v_cvt_f32_f16_e32 v9, v9
	v_cvt_f64_f32_e32 v[3:4], v3
	s_delay_alu instid0(VALU_DEP_1) | instskip(NEXT) | instid1(VALU_DEP_1)
	v_mul_f64 v[4:5], v[3:4], s[10:11]
	v_and_or_b32 v3, 0x1ff, v5, v4
	v_lshrrev_b32_e32 v4, 8, v5
	v_bfe_u32 v12, v5, 20, 11
	v_lshrrev_b32_e32 v5, 16, v5
	s_delay_alu instid0(VALU_DEP_4) | instskip(NEXT) | instid1(VALU_DEP_1)
	v_cmp_ne_u32_e64 s1, 0, v3
	v_cndmask_b32_e64 v3, 0, 1, s1
	s_delay_alu instid0(VALU_DEP_1) | instskip(SKIP_2) | instid1(VALU_DEP_3)
	v_and_or_b32 v11, 0xffe, v4, v3
	v_sub_nc_u32_e32 v3, 0x3f1, v12
	v_add_nc_u32_e32 v12, 0xfffffc10, v12
	v_or_b32_e32 v4, 0x1000, v11
	s_delay_alu instid0(VALU_DEP_3) | instskip(SKIP_1) | instid1(VALU_DEP_2)
	v_med3_i32 v3, v3, 0, 13
	v_cmp_ne_u32_e64 s7, 0, v11
	v_lshrrev_b32_e32 v19, v3, v4
	s_delay_alu instid0(VALU_DEP_1) | instskip(NEXT) | instid1(VALU_DEP_1)
	v_lshlrev_b32_e32 v3, v3, v19
	v_cmp_ne_u32_e64 s1, v3, v4
	v_cvt_f32_f16_e32 v3, v8
	s_delay_alu instid0(VALU_DEP_1) | instskip(NEXT) | instid1(VALU_DEP_1)
	v_cvt_f64_f32_e32 v[3:4], v3
	v_mul_f64 v[3:4], v[3:4], s[10:11]
	s_delay_alu instid0(VALU_DEP_1) | instskip(SKIP_1) | instid1(VALU_DEP_2)
	v_and_or_b32 v3, 0x1ff, v4, v3
	v_lshrrev_b32_e32 v8, 8, v4
	v_cmp_ne_u32_e64 s3, 0, v3
	s_delay_alu instid0(VALU_DEP_1) | instskip(NEXT) | instid1(VALU_DEP_1)
	v_cndmask_b32_e64 v3, 0, 1, s3
	v_and_or_b32 v3, 0xffe, v8, v3
	v_bfe_u32 v8, v4, 20, 11
	v_lshrrev_b32_e32 v4, 16, v4
	s_delay_alu instid0(VALU_DEP_3) | instskip(NEXT) | instid1(VALU_DEP_3)
	v_or_b32_e32 v27, 0x1000, v3
	v_sub_nc_u32_e32 v26, 0x3f1, v8
	v_add_nc_u32_e32 v8, 0xfffffc10, v8
	s_delay_alu instid0(VALU_DEP_2) | instskip(NEXT) | instid1(VALU_DEP_1)
	v_med3_i32 v26, v26, 0, 13
	v_lshrrev_b32_e32 v28, v26, v27
	s_delay_alu instid0(VALU_DEP_1) | instskip(NEXT) | instid1(VALU_DEP_1)
	v_lshlrev_b32_e32 v26, v26, v28
	v_cmp_ne_u32_e64 s3, v26, v27
	v_lshl_or_b32 v27, v8, 12, v3
	s_delay_alu instid0(VALU_DEP_2) | instskip(SKIP_1) | instid1(VALU_DEP_2)
	v_cndmask_b32_e64 v26, 0, 1, s3
	v_cmp_gt_i32_e64 s3, 1, v8
	v_or_b32_e32 v26, v28, v26
	s_delay_alu instid0(VALU_DEP_1) | instskip(NEXT) | instid1(VALU_DEP_1)
	v_cndmask_b32_e64 v26, v27, v26, s3
	v_and_b32_e32 v27, 7, v26
	s_delay_alu instid0(VALU_DEP_1) | instskip(SKIP_4) | instid1(VALU_DEP_4)
	v_cmp_lt_i32_e64 s3, 5, v27
	v_cmp_eq_u32_e64 s4, 3, v27
	v_cndmask_b32_e64 v27, 0, 1, s2
	v_cmp_ne_u32_e64 s2, 0, v3
	v_add_nc_u32_e32 v3, 0xfffffc10, v20
	s_or_b32 s3, s4, s3
	s_delay_alu instid0(VALU_DEP_3) | instskip(SKIP_1) | instid1(VALU_DEP_3)
	v_or_b32_e32 v24, v24, v27
	v_cmp_ne_u32_e64 s4, 0, v6
	v_lshl_or_b32 v20, v3, 12, v6
	v_cmp_gt_i32_e64 s5, 1, v3
	s_delay_alu instid0(VALU_DEP_1) | instskip(SKIP_3) | instid1(VALU_DEP_4)
	v_cndmask_b32_e64 v20, v20, v24, s5
	v_lshrrev_b32_e32 v24, 2, v26
	v_cndmask_b32_e64 v26, 0, 1, s2
	v_cmp_eq_u32_e64 s2, 0x40f, v8
	v_lshrrev_b32_e32 v6, 2, v20
	s_delay_alu instid0(VALU_DEP_4) | instskip(SKIP_2) | instid1(VALU_DEP_2)
	v_add_co_ci_u32_e64 v24, s3, 0, v24, s3
	v_cmp_gt_i32_e64 s3, 31, v8
	v_lshl_or_b32 v26, v26, 9, 0x7c00
	v_cndmask_b32_e64 v24, 0x7c00, v24, s3
	s_delay_alu instid0(VALU_DEP_1) | instskip(SKIP_2) | instid1(VALU_DEP_3)
	v_cndmask_b32_e64 v8, v24, v26, s2
	v_and_b32_e32 v24, 7, v20
	v_cndmask_b32_e64 v20, 0, 1, s4
	v_and_or_b32 v4, 0x8000, v4, v8
	s_delay_alu instid0(VALU_DEP_3) | instskip(SKIP_1) | instid1(VALU_DEP_4)
	v_cmp_lt_i32_e64 s2, 5, v24
	v_cmp_eq_u32_e64 s3, 3, v24
	v_lshl_or_b32 v20, v20, 9, 0x7c00
	s_delay_alu instid0(VALU_DEP_4) | instskip(NEXT) | instid1(VALU_DEP_3)
	v_and_b32_e32 v4, 0xffff, v4
	s_or_b32 s2, s3, s2
	s_delay_alu instid0(SALU_CYCLE_1) | instskip(SKIP_1) | instid1(VALU_DEP_1)
	v_add_co_ci_u32_e64 v6, s2, 0, v6, s2
	v_cmp_gt_i32_e64 s2, 31, v3
	v_cndmask_b32_e64 v6, 0x7c00, v6, s2
	v_cmp_eq_u32_e64 s2, 0x40f, v3
	s_delay_alu instid0(VALU_DEP_1) | instskip(SKIP_1) | instid1(VALU_DEP_1)
	v_cndmask_b32_e64 v3, v6, v20, s2
	v_lshrrev_b32_e32 v6, 16, v7
	v_and_or_b32 v3, 0x8000, v6, v3
	s_delay_alu instid0(VALU_DEP_1) | instskip(SKIP_3) | instid1(VALU_DEP_1)
	v_lshl_or_b32 v3, v3, 16, v4
	global_store_b32 v[1:2], v3, off
	v_cvt_f32_f16_e32 v3, v10
	v_add_co_u32 v1, s2, v1, s12
	v_add_co_ci_u32_e64 v2, s2, s13, v2, s2
	s_delay_alu instid0(VALU_DEP_3) | instskip(NEXT) | instid1(VALU_DEP_1)
	v_cvt_f64_f32_e32 v[3:4], v3
	v_mul_f64 v[3:4], v[3:4], s[10:11]
	s_delay_alu instid0(VALU_DEP_1) | instskip(SKIP_1) | instid1(VALU_DEP_2)
	v_and_or_b32 v3, 0x1ff, v4, v3
	v_lshrrev_b32_e32 v6, 8, v4
	v_cmp_ne_u32_e64 s2, 0, v3
	s_delay_alu instid0(VALU_DEP_1) | instskip(NEXT) | instid1(VALU_DEP_1)
	v_cndmask_b32_e64 v3, 0, 1, s2
	v_and_or_b32 v3, 0xffe, v6, v3
	v_bfe_u32 v6, v4, 20, 11
	v_lshrrev_b32_e32 v4, 16, v4
	s_delay_alu instid0(VALU_DEP_3) | instskip(NEXT) | instid1(VALU_DEP_3)
	v_or_b32_e32 v8, 0x1000, v3
	v_sub_nc_u32_e32 v7, 0x3f1, v6
	v_add_nc_u32_e32 v6, 0xfffffc10, v6
	v_cmp_ne_u32_e64 s3, 0, v3
	s_delay_alu instid0(VALU_DEP_3) | instskip(NEXT) | instid1(VALU_DEP_1)
	v_med3_i32 v7, v7, 0, 13
	v_lshrrev_b32_e32 v10, v7, v8
	s_delay_alu instid0(VALU_DEP_1) | instskip(NEXT) | instid1(VALU_DEP_1)
	v_lshlrev_b32_e32 v7, v7, v10
	v_cmp_ne_u32_e64 s2, v7, v8
	v_lshl_or_b32 v8, v6, 12, v3
	s_delay_alu instid0(VALU_DEP_2) | instskip(SKIP_1) | instid1(VALU_DEP_2)
	v_cndmask_b32_e64 v7, 0, 1, s2
	v_cmp_gt_i32_e64 s2, 1, v6
	v_or_b32_e32 v7, v10, v7
	v_add_nc_u32_e32 v10, 0xfffffc10, v21
	s_delay_alu instid0(VALU_DEP_2) | instskip(SKIP_1) | instid1(VALU_DEP_3)
	v_cndmask_b32_e64 v7, v8, v7, s2
	v_cndmask_b32_e64 v8, 0, 1, s0
	v_lshl_or_b32 v20, v10, 12, v15
	v_cmp_gt_i32_e64 s0, 1, v10
	s_delay_alu instid0(VALU_DEP_3) | instskip(NEXT) | instid1(VALU_DEP_1)
	v_or_b32_e32 v8, v23, v8
	v_cndmask_b32_e64 v8, v20, v8, s0
	v_and_b32_e32 v20, 7, v7
	s_delay_alu instid0(VALU_DEP_2) | instskip(NEXT) | instid1(VALU_DEP_2)
	v_and_b32_e32 v3, 7, v8
	v_cmp_lt_i32_e64 s0, 5, v20
	v_cmp_eq_u32_e64 s2, 3, v20
	s_delay_alu instid0(VALU_DEP_3) | instskip(SKIP_2) | instid1(VALU_DEP_4)
	v_cmp_lt_i32_e64 s4, 5, v3
	v_cmp_eq_u32_e64 s5, 3, v3
	v_lshrrev_b32_e32 v3, 2, v7
	s_or_b32 s0, s2, s0
	v_cndmask_b32_e64 v7, 0, 1, s3
	s_delay_alu instid0(VALU_DEP_3) | instskip(NEXT) | instid1(VALU_DEP_2)
	s_or_b32 s2, s5, s4
	v_add_co_ci_u32_e64 v3, s0, 0, v3, s0
	v_cmp_gt_i32_e64 s0, 31, v6
	s_delay_alu instid0(VALU_DEP_3) | instskip(NEXT) | instid1(VALU_DEP_2)
	v_lshl_or_b32 v7, v7, 9, 0x7c00
	v_cndmask_b32_e64 v3, 0x7c00, v3, s0
	v_cmp_eq_u32_e64 s0, 0x40f, v6
	v_lshrrev_b32_e32 v6, 2, v8
	s_delay_alu instid0(VALU_DEP_2) | instskip(SKIP_1) | instid1(VALU_DEP_3)
	v_cndmask_b32_e64 v3, v3, v7, s0
	v_cmp_ne_u32_e64 s0, 0, v15
	v_add_co_ci_u32_e64 v6, s2, 0, v6, s2
	v_cmp_gt_i32_e64 s2, 31, v10
	s_delay_alu instid0(VALU_DEP_4) | instskip(NEXT) | instid1(VALU_DEP_4)
	v_and_or_b32 v3, 0x8000, v4, v3
	v_cndmask_b32_e64 v7, 0, 1, s0
	v_cmp_eq_u32_e64 s0, 0x40f, v10
	s_delay_alu instid0(VALU_DEP_4) | instskip(NEXT) | instid1(VALU_DEP_4)
	v_cndmask_b32_e64 v6, 0x7c00, v6, s2
	v_and_b32_e32 v3, 0xffff, v3
	s_delay_alu instid0(VALU_DEP_4) | instskip(NEXT) | instid1(VALU_DEP_1)
	v_lshl_or_b32 v7, v7, 9, 0x7c00
	v_cndmask_b32_e64 v6, v6, v7, s0
	v_lshrrev_b32_e32 v7, 16, v22
	v_add_co_u32 v23, s0, v1, s12
	s_delay_alu instid0(VALU_DEP_1) | instskip(NEXT) | instid1(VALU_DEP_3)
	v_add_co_ci_u32_e64 v24, s0, s13, v2, s0
	v_and_or_b32 v4, 0x8000, v7, v6
	s_delay_alu instid0(VALU_DEP_1)
	v_lshl_or_b32 v3, v4, 16, v3
	global_store_b32 v[1:2], v3, off
	v_cvt_f32_f16_e32 v1, v25
	ds_load_2addr_b32 v[3:4], v98 offset0:112 offset1:168
	v_cvt_f64_f32_e32 v[1:2], v1
	s_waitcnt lgkmcnt(0)
	v_lshrrev_b32_e32 v26, 16, v3
	s_delay_alu instid0(VALU_DEP_2) | instskip(NEXT) | instid1(VALU_DEP_1)
	v_mul_f64 v[6:7], v[1:2], s[10:11]
	v_and_or_b32 v1, 0x1ff, v7, v6
	v_lshrrev_b32_e32 v2, 8, v7
	v_bfe_u32 v15, v7, 20, 11
	v_lshrrev_b32_e32 v7, 16, v7
	s_delay_alu instid0(VALU_DEP_4) | instskip(NEXT) | instid1(VALU_DEP_1)
	v_cmp_ne_u32_e64 s0, 0, v1
	v_cndmask_b32_e64 v1, 0, 1, s0
	s_delay_alu instid0(VALU_DEP_1) | instskip(SKIP_2) | instid1(VALU_DEP_3)
	v_and_or_b32 v8, 0xffe, v2, v1
	v_sub_nc_u32_e32 v1, 0x3f1, v15
	v_add_nc_u32_e32 v15, 0xfffffc10, v15
	v_or_b32_e32 v2, 0x1000, v8
	s_delay_alu instid0(VALU_DEP_3) | instskip(NEXT) | instid1(VALU_DEP_1)
	v_med3_i32 v1, v1, 0, 13
	v_lshrrev_b32_e32 v21, v1, v2
	s_delay_alu instid0(VALU_DEP_1) | instskip(NEXT) | instid1(VALU_DEP_1)
	v_lshlrev_b32_e32 v1, v1, v21
	v_cmp_ne_u32_e64 s0, v1, v2
	v_mul_f16_e32 v1, v31, v3
	s_delay_alu instid0(VALU_DEP_1) | instskip(NEXT) | instid1(VALU_DEP_1)
	v_fma_f16 v1, v140, v26, -v1
	v_cvt_f32_f16_e32 v1, v1
	s_delay_alu instid0(VALU_DEP_1) | instskip(NEXT) | instid1(VALU_DEP_1)
	v_cvt_f64_f32_e32 v[1:2], v1
	v_mul_f64 v[1:2], v[1:2], s[10:11]
	s_delay_alu instid0(VALU_DEP_1) | instskip(SKIP_3) | instid1(VALU_DEP_4)
	v_and_or_b32 v1, 0x1ff, v2, v1
	v_lshrrev_b32_e32 v6, 8, v2
	v_bfe_u32 v20, v2, 20, 11
	v_lshrrev_b32_e32 v2, 16, v2
	v_cmp_ne_u32_e64 s2, 0, v1
	s_delay_alu instid0(VALU_DEP_1) | instskip(NEXT) | instid1(VALU_DEP_1)
	v_cndmask_b32_e64 v1, 0, 1, s2
	v_and_or_b32 v10, 0xffe, v6, v1
	v_sub_nc_u32_e32 v1, 0x3f1, v20
	v_add_nc_u32_e32 v20, 0xfffffc10, v20
	s_delay_alu instid0(VALU_DEP_3) | instskip(NEXT) | instid1(VALU_DEP_3)
	v_or_b32_e32 v6, 0x1000, v10
	v_med3_i32 v1, v1, 0, 13
	s_delay_alu instid0(VALU_DEP_1) | instskip(NEXT) | instid1(VALU_DEP_1)
	v_lshrrev_b32_e32 v22, v1, v6
	v_lshlrev_b32_e32 v1, v1, v22
	s_delay_alu instid0(VALU_DEP_1) | instskip(SKIP_1) | instid1(VALU_DEP_1)
	v_cmp_ne_u32_e64 s2, v1, v6
	v_cvt_f64_f32_e32 v[0:1], v0
	v_mul_f64 v[0:1], v[0:1], s[10:11]
	s_delay_alu instid0(VALU_DEP_1) | instskip(SKIP_1) | instid1(VALU_DEP_2)
	v_and_or_b32 v0, 0x1ff, v1, v0
	v_lshrrev_b32_e32 v6, 8, v1
	v_cmp_ne_u32_e64 s3, 0, v0
	s_delay_alu instid0(VALU_DEP_1) | instskip(NEXT) | instid1(VALU_DEP_1)
	v_cndmask_b32_e64 v0, 0, 1, s3
	v_and_or_b32 v0, 0xffe, v6, v0
	v_bfe_u32 v6, v1, 20, 11
	v_lshrrev_b32_e32 v1, 16, v1
	s_delay_alu instid0(VALU_DEP_3) | instskip(NEXT) | instid1(VALU_DEP_3)
	v_or_b32_e32 v27, 0x1000, v0
	v_sub_nc_u32_e32 v25, 0x3f1, v6
	v_add_nc_u32_e32 v6, 0xfffffc10, v6
	v_cmp_ne_u32_e64 s4, 0, v0
	s_delay_alu instid0(VALU_DEP_3) | instskip(NEXT) | instid1(VALU_DEP_1)
	v_med3_i32 v25, v25, 0, 13
	v_lshrrev_b32_e32 v28, v25, v27
	s_delay_alu instid0(VALU_DEP_1) | instskip(NEXT) | instid1(VALU_DEP_1)
	v_lshlrev_b32_e32 v25, v25, v28
	v_cmp_ne_u32_e64 s3, v25, v27
	v_lshl_or_b32 v27, v6, 12, v0
	s_delay_alu instid0(VALU_DEP_2) | instskip(SKIP_1) | instid1(VALU_DEP_2)
	v_cndmask_b32_e64 v25, 0, 1, s3
	v_cmp_gt_i32_e64 s3, 1, v6
	v_or_b32_e32 v25, v28, v25
	s_delay_alu instid0(VALU_DEP_1) | instskip(SKIP_2) | instid1(VALU_DEP_2)
	v_cndmask_b32_e64 v25, v27, v25, s3
	v_cndmask_b32_e64 v27, 0, 1, s1
	v_cmp_gt_i32_e64 s1, 1, v12
	v_or_b32_e32 v19, v19, v27
	v_lshl_or_b32 v27, v12, 12, v11
	v_cndmask_b32_e64 v11, 0, 1, s4
	s_delay_alu instid0(VALU_DEP_2) | instskip(SKIP_1) | instid1(VALU_DEP_3)
	v_cndmask_b32_e64 v19, v27, v19, s1
	v_and_b32_e32 v27, 7, v25
	v_lshl_or_b32 v11, v11, 9, 0x7c00
	s_delay_alu instid0(VALU_DEP_3) | instskip(NEXT) | instid1(VALU_DEP_3)
	v_and_b32_e32 v0, 7, v19
	v_cmp_lt_i32_e64 s1, 5, v27
	v_cmp_eq_u32_e64 s3, 3, v27
	s_delay_alu instid0(VALU_DEP_3) | instskip(SKIP_2) | instid1(VALU_DEP_4)
	v_cmp_lt_i32_e64 s5, 5, v0
	v_cmp_eq_u32_e64 s6, 3, v0
	v_lshrrev_b32_e32 v0, 2, v25
	s_or_b32 s1, s3, s1
	s_delay_alu instid0(VALU_DEP_1) | instid1(SALU_CYCLE_1)
	v_add_co_ci_u32_e64 v0, s1, 0, v0, s1
	v_cmp_gt_i32_e64 s1, 31, v6
	s_delay_alu instid0(VALU_DEP_1) | instskip(SKIP_2) | instid1(VALU_DEP_2)
	v_cndmask_b32_e64 v0, 0x7c00, v0, s1
	v_cmp_eq_u32_e64 s1, 0x40f, v6
	v_lshrrev_b32_e32 v6, 2, v19
	v_cndmask_b32_e64 v0, v0, v11, s1
	s_or_b32 s1, s6, s5
	v_cndmask_b32_e64 v11, 0, 1, s7
	s_delay_alu instid0(VALU_DEP_3) | instskip(SKIP_2) | instid1(VALU_DEP_4)
	v_add_co_ci_u32_e64 v6, s1, 0, v6, s1
	v_cmp_gt_i32_e64 s1, 31, v12
	v_and_or_b32 v0, 0x8000, v1, v0
	v_lshl_or_b32 v11, v11, 9, 0x7c00
	s_delay_alu instid0(VALU_DEP_3) | instskip(SKIP_1) | instid1(VALU_DEP_4)
	v_cndmask_b32_e64 v6, 0x7c00, v6, s1
	v_cmp_eq_u32_e64 s1, 0x40f, v12
	v_and_b32_e32 v0, 0xffff, v0
	s_delay_alu instid0(VALU_DEP_2) | instskip(SKIP_1) | instid1(VALU_DEP_1)
	v_cndmask_b32_e64 v6, v6, v11, s1
	v_add_co_u32 v11, s1, v23, s12
	v_add_co_ci_u32_e64 v12, s1, s13, v24, s1
	s_delay_alu instid0(VALU_DEP_3)
	v_and_or_b32 v1, 0x8000, v5, v6
	ds_load_2addr_b32 v[5:6], v66 offset0:90 offset1:146
	v_lshl_or_b32 v0, v1, 16, v0
	global_store_b32 v[23:24], v0, off
	s_waitcnt lgkmcnt(0)
	v_lshrrev_b32_e32 v24, 16, v5
	v_mul_f16_e32 v0, v33, v5
	s_delay_alu instid0(VALU_DEP_1) | instskip(SKIP_1) | instid1(VALU_DEP_2)
	v_fma_f16 v0, v141, v24, -v0
	v_mul_f16_e32 v24, v33, v24
	v_cvt_f32_f16_e32 v0, v0
	s_delay_alu instid0(VALU_DEP_2) | instskip(SKIP_1) | instid1(VALU_DEP_3)
	v_fmac_f16_e64 v24, v141, v5
	v_lshrrev_b32_e32 v5, 16, v6
	v_cvt_f64_f32_e32 v[0:1], v0
	s_delay_alu instid0(VALU_DEP_1) | instskip(NEXT) | instid1(VALU_DEP_1)
	v_mul_f64 v[0:1], v[0:1], s[10:11]
	v_and_or_b32 v0, 0x1ff, v1, v0
	v_lshrrev_b32_e32 v19, 8, v1
	s_delay_alu instid0(VALU_DEP_2) | instskip(NEXT) | instid1(VALU_DEP_1)
	v_cmp_ne_u32_e64 s1, 0, v0
	v_cndmask_b32_e64 v0, 0, 1, s1
	s_delay_alu instid0(VALU_DEP_1) | instskip(SKIP_2) | instid1(VALU_DEP_3)
	v_and_or_b32 v0, 0xffe, v19, v0
	v_bfe_u32 v19, v1, 20, 11
	v_lshrrev_b32_e32 v1, 16, v1
	v_or_b32_e32 v27, 0x1000, v0
	s_delay_alu instid0(VALU_DEP_3) | instskip(NEXT) | instid1(VALU_DEP_1)
	v_sub_nc_u32_e32 v23, 0x3f1, v19
	v_med3_i32 v23, v23, 0, 13
	s_delay_alu instid0(VALU_DEP_1) | instskip(NEXT) | instid1(VALU_DEP_1)
	v_lshrrev_b32_e32 v25, v23, v27
	v_lshlrev_b32_e32 v23, v23, v25
	s_delay_alu instid0(VALU_DEP_1) | instskip(SKIP_1) | instid1(VALU_DEP_1)
	v_cmp_ne_u32_e64 s1, v23, v27
	v_cvt_f64_f32_e32 v[27:28], v9
	v_mul_f64 v[27:28], v[27:28], s[10:11]
	s_delay_alu instid0(VALU_DEP_1) | instskip(SKIP_1) | instid1(VALU_DEP_2)
	v_and_or_b32 v9, 0x1ff, v28, v27
	v_lshrrev_b32_e32 v23, 8, v28
	v_cmp_ne_u32_e64 s3, 0, v9
	s_delay_alu instid0(VALU_DEP_1) | instskip(NEXT) | instid1(VALU_DEP_1)
	v_cndmask_b32_e64 v9, 0, 1, s3
	v_and_or_b32 v9, 0xffe, v23, v9
	v_bfe_u32 v23, v28, 20, 11
	s_delay_alu instid0(VALU_DEP_2) | instskip(NEXT) | instid1(VALU_DEP_2)
	v_or_b32_e32 v29, 0x1000, v9
	v_sub_nc_u32_e32 v27, 0x3f1, v23
	v_add_nc_u32_e32 v23, 0xfffffc10, v23
	v_cmp_ne_u32_e64 s5, 0, v9
	s_delay_alu instid0(VALU_DEP_3) | instskip(NEXT) | instid1(VALU_DEP_1)
	v_med3_i32 v27, v27, 0, 13
	v_lshrrev_b32_e32 v30, v27, v29
	s_delay_alu instid0(VALU_DEP_1) | instskip(NEXT) | instid1(VALU_DEP_1)
	v_lshlrev_b32_e32 v27, v27, v30
	v_cmp_ne_u32_e64 s3, v27, v29
	v_lshl_or_b32 v29, v23, 12, v9
	v_cndmask_b32_e64 v9, 0, 1, s0
	v_cmp_gt_i32_e64 s0, 1, v15
	s_delay_alu instid0(VALU_DEP_4) | instskip(SKIP_1) | instid1(VALU_DEP_4)
	v_cndmask_b32_e64 v27, 0, 1, s3
	v_cmp_gt_i32_e64 s3, 1, v23
	v_or_b32_e32 v9, v21, v9
	v_lshl_or_b32 v21, v15, 12, v8
	s_delay_alu instid0(VALU_DEP_4) | instskip(NEXT) | instid1(VALU_DEP_2)
	v_or_b32_e32 v27, v30, v27
	v_cndmask_b32_e64 v9, v21, v9, s0
	s_delay_alu instid0(VALU_DEP_2) | instskip(NEXT) | instid1(VALU_DEP_1)
	v_cndmask_b32_e64 v27, v29, v27, s3
	v_and_b32_e32 v29, 7, v27
	v_lshrrev_b32_e32 v21, 2, v27
	v_cndmask_b32_e64 v27, 0, 1, s5
	s_delay_alu instid0(VALU_DEP_3) | instskip(SKIP_1) | instid1(VALU_DEP_3)
	v_cmp_lt_i32_e64 s3, 5, v29
	v_cmp_eq_u32_e64 s4, 3, v29
	v_lshl_or_b32 v27, v27, 9, 0x7c00
	s_delay_alu instid0(VALU_DEP_2) | instskip(SKIP_4) | instid1(VALU_DEP_2)
	s_or_b32 s0, s4, s3
	v_cmp_ne_u32_e64 s4, 0, v8
	v_add_co_ci_u32_e64 v21, s0, 0, v21, s0
	v_cmp_gt_i32_e64 s0, 31, v23
	v_lshrrev_b32_e32 v8, 2, v9
	v_cndmask_b32_e64 v21, 0x7c00, v21, s0
	v_cmp_eq_u32_e64 s0, 0x40f, v23
	v_and_b32_e32 v23, 7, v9
	v_cndmask_b32_e64 v9, 0, 1, s4
	s_delay_alu instid0(VALU_DEP_3) | instskip(NEXT) | instid1(VALU_DEP_3)
	v_cndmask_b32_e64 v21, v21, v27, s0
	v_cmp_lt_i32_e64 s0, 5, v23
	v_cmp_eq_u32_e64 s3, 3, v23
	v_lshrrev_b32_e32 v23, 16, v28
	v_lshl_or_b32 v9, v9, 9, 0x7c00
	s_delay_alu instid0(VALU_DEP_3) | instskip(NEXT) | instid1(SALU_CYCLE_1)
	s_or_b32 s0, s3, s0
	v_add_co_ci_u32_e64 v8, s0, 0, v8, s0
	v_cmp_gt_i32_e64 s0, 31, v15
	s_delay_alu instid0(VALU_DEP_1) | instskip(SKIP_1) | instid1(VALU_DEP_1)
	v_cndmask_b32_e64 v8, 0x7c00, v8, s0
	v_cmp_eq_u32_e64 s0, 0x40f, v15
	v_cndmask_b32_e64 v8, v8, v9, s0
	v_and_or_b32 v9, 0x8000, v23, v21
	v_add_co_u32 v28, s0, v11, s15
	s_delay_alu instid0(VALU_DEP_1) | instskip(NEXT) | instid1(VALU_DEP_4)
	v_add_co_ci_u32_e64 v29, s0, s14, v12, s0
	v_and_or_b32 v7, 0x8000, v7, v8
	s_delay_alu instid0(VALU_DEP_4) | instskip(NEXT) | instid1(VALU_DEP_1)
	v_and_b32_e32 v8, 0xffff, v9
	v_lshl_or_b32 v7, v7, 16, v8
	global_store_b32 v[11:12], v7, off
	ds_load_2addr_b32 v[11:12], v56 offset0:68 offset1:124
	s_waitcnt lgkmcnt(0)
	v_lshrrev_b32_e32 v27, 16, v11
	v_mul_f16_e32 v7, v36, v11
	s_delay_alu instid0(VALU_DEP_1)
	v_fma_f16 v7, v136, v27, -v7
	v_mul_f16_e32 v27, v36, v27
	scratch_load_b32 v36, off, off offset:92 ; 4-byte Folded Reload
	v_cvt_f32_f16_e32 v7, v7
	v_fmac_f16_e64 v27, v136, v11
	v_lshrrev_b32_e32 v11, 16, v12
	s_delay_alu instid0(VALU_DEP_3) | instskip(NEXT) | instid1(VALU_DEP_1)
	v_cvt_f64_f32_e32 v[7:8], v7
	v_mul_f64 v[7:8], v[7:8], s[10:11]
	s_delay_alu instid0(VALU_DEP_1) | instskip(SKIP_3) | instid1(VALU_DEP_4)
	v_and_or_b32 v7, 0x1ff, v8, v7
	v_lshrrev_b32_e32 v9, 8, v8
	v_bfe_u32 v21, v8, 20, 11
	v_lshrrev_b32_e32 v8, 16, v8
	v_cmp_ne_u32_e64 s0, 0, v7
	s_delay_alu instid0(VALU_DEP_1) | instskip(NEXT) | instid1(VALU_DEP_1)
	v_cndmask_b32_e64 v7, 0, 1, s0
	v_and_or_b32 v15, 0xffe, v9, v7
	v_sub_nc_u32_e32 v7, 0x3f1, v21
	s_delay_alu instid0(VALU_DEP_2) | instskip(NEXT) | instid1(VALU_DEP_2)
	v_or_b32_e32 v9, 0x1000, v15
	v_med3_i32 v7, v7, 0, 13
	s_delay_alu instid0(VALU_DEP_1) | instskip(NEXT) | instid1(VALU_DEP_1)
	v_lshrrev_b32_e32 v23, v7, v9
	v_lshlrev_b32_e32 v7, v7, v23
	s_delay_alu instid0(VALU_DEP_1) | instskip(SKIP_2) | instid1(VALU_DEP_2)
	v_cmp_ne_u32_e64 s0, v7, v9
	v_mul_f16_e32 v9, v31, v26
	v_lshrrev_b32_e32 v26, 16, v139
	v_fmac_f16_e64 v9, v140, v3
	v_lshrrev_b32_e32 v3, 16, v4
	s_delay_alu instid0(VALU_DEP_1) | instskip(SKIP_1) | instid1(VALU_DEP_2)
	v_mul_f16_e32 v7, v26, v3
	v_mul_f16_e32 v26, v26, v4
	v_fmac_f16_e64 v7, v139, v4
	s_delay_alu instid0(VALU_DEP_2) | instskip(SKIP_1) | instid1(VALU_DEP_1)
	v_fma_f16 v30, v139, v3, -v26
	v_cvt_f32_f16_e32 v3, v9
	v_cvt_f64_f32_e32 v[3:4], v3
	s_delay_alu instid0(VALU_DEP_1) | instskip(NEXT) | instid1(VALU_DEP_1)
	v_mul_f64 v[3:4], v[3:4], s[10:11]
	v_and_or_b32 v3, 0x1ff, v4, v3
	v_lshrrev_b32_e32 v9, 8, v4
	s_delay_alu instid0(VALU_DEP_2) | instskip(NEXT) | instid1(VALU_DEP_1)
	v_cmp_ne_u32_e64 s3, 0, v3
	v_cndmask_b32_e64 v3, 0, 1, s3
	s_delay_alu instid0(VALU_DEP_1) | instskip(SKIP_2) | instid1(VALU_DEP_3)
	v_and_or_b32 v3, 0xffe, v9, v3
	v_bfe_u32 v9, v4, 20, 11
	v_lshrrev_b32_e32 v4, 16, v4
	v_or_b32_e32 v31, 0x1000, v3
	s_delay_alu instid0(VALU_DEP_3) | instskip(SKIP_2) | instid1(VALU_DEP_3)
	v_sub_nc_u32_e32 v26, 0x3f1, v9
	v_add_nc_u32_e32 v9, 0xfffffc10, v9
	v_cmp_ne_u32_e64 s5, 0, v3
	v_med3_i32 v26, v26, 0, 13
	s_delay_alu instid0(VALU_DEP_1) | instskip(NEXT) | instid1(VALU_DEP_1)
	v_lshrrev_b32_e32 v32, v26, v31
	v_lshlrev_b32_e32 v26, v26, v32
	s_delay_alu instid0(VALU_DEP_1) | instskip(SKIP_3) | instid1(VALU_DEP_4)
	v_cmp_ne_u32_e64 s3, v26, v31
	v_lshl_or_b32 v31, v9, 12, v3
	v_cndmask_b32_e64 v3, 0, 1, s2
	v_cmp_gt_i32_e64 s2, 1, v20
	v_cndmask_b32_e64 v26, 0, 1, s3
	v_cmp_gt_i32_e64 s3, 1, v9
	s_delay_alu instid0(VALU_DEP_4) | instskip(SKIP_1) | instid1(VALU_DEP_4)
	v_or_b32_e32 v3, v22, v3
	v_lshl_or_b32 v22, v20, 12, v10
	v_or_b32_e32 v26, v32, v26
	s_delay_alu instid0(VALU_DEP_2) | instskip(NEXT) | instid1(VALU_DEP_2)
	v_cndmask_b32_e64 v3, v22, v3, s2
	v_cndmask_b32_e64 v26, v31, v26, s3
	s_delay_alu instid0(VALU_DEP_1) | instskip(SKIP_2) | instid1(VALU_DEP_3)
	v_and_b32_e32 v31, 7, v26
	v_lshrrev_b32_e32 v22, 2, v26
	v_cndmask_b32_e64 v26, 0, 1, s5
	v_cmp_lt_i32_e64 s3, 5, v31
	v_cmp_eq_u32_e64 s4, 3, v31
	s_delay_alu instid0(VALU_DEP_3) | instskip(NEXT) | instid1(VALU_DEP_2)
	v_lshl_or_b32 v26, v26, 9, 0x7c00
	s_or_b32 s2, s4, s3
	v_cmp_ne_u32_e64 s4, 0, v10
	v_add_co_ci_u32_e64 v22, s2, 0, v22, s2
	v_cmp_gt_i32_e64 s2, 31, v9
	s_delay_alu instid0(VALU_DEP_3) | instskip(NEXT) | instid1(VALU_DEP_2)
	v_cndmask_b32_e64 v10, 0, 1, s4
	v_cndmask_b32_e64 v22, 0x7c00, v22, s2
	v_cmp_eq_u32_e64 s2, 0x40f, v9
	s_delay_alu instid0(VALU_DEP_3) | instskip(NEXT) | instid1(VALU_DEP_2)
	v_lshl_or_b32 v10, v10, 9, 0x7c00
	v_cndmask_b32_e64 v9, v22, v26, s2
	v_and_b32_e32 v22, 7, v3
	v_lshrrev_b32_e32 v3, 2, v3
	s_delay_alu instid0(VALU_DEP_3) | instskip(NEXT) | instid1(VALU_DEP_3)
	v_and_or_b32 v4, 0x8000, v4, v9
	v_cmp_lt_i32_e64 s2, 5, v22
	v_cmp_eq_u32_e64 s3, 3, v22
	s_delay_alu instid0(VALU_DEP_1) | instskip(NEXT) | instid1(SALU_CYCLE_1)
	s_or_b32 s2, s3, s2
	v_add_co_ci_u32_e64 v3, s2, 0, v3, s2
	v_cmp_gt_i32_e64 s2, 31, v20
	s_delay_alu instid0(VALU_DEP_1) | instskip(SKIP_1) | instid1(VALU_DEP_1)
	v_cndmask_b32_e64 v3, 0x7c00, v3, s2
	v_cmp_eq_u32_e64 s2, 0x40f, v20
	v_cndmask_b32_e64 v3, v3, v10, s2
	ds_load_2addr_b32 v[9:10], v18 offset0:46 offset1:102
	v_and_or_b32 v2, 0x8000, v2, v3
	v_and_b32_e32 v3, 0xffff, v4
	s_delay_alu instid0(VALU_DEP_1) | instskip(SKIP_2) | instid1(VALU_DEP_1)
	v_lshl_or_b32 v2, v2, 16, v3
	global_store_b32 v[28:29], v2, off
	v_add_co_u32 v28, s2, v28, s12
	v_add_co_ci_u32_e64 v29, s2, s13, v29, s2
	s_waitcnt lgkmcnt(0)
	v_lshrrev_b32_e32 v26, 16, v9
	v_mul_f16_e32 v2, v35, v9
	s_delay_alu instid0(VALU_DEP_1) | instskip(NEXT) | instid1(VALU_DEP_1)
	v_fma_f16 v2, v132, v26, -v2
	v_cvt_f32_f16_e32 v2, v2
	s_delay_alu instid0(VALU_DEP_1) | instskip(NEXT) | instid1(VALU_DEP_1)
	v_cvt_f64_f32_e32 v[2:3], v2
	v_mul_f64 v[2:3], v[2:3], s[10:11]
	s_delay_alu instid0(VALU_DEP_1) | instskip(SKIP_3) | instid1(VALU_DEP_4)
	v_and_or_b32 v2, 0x1ff, v3, v2
	v_lshrrev_b32_e32 v4, 8, v3
	v_bfe_u32 v20, v3, 20, 11
	v_lshrrev_b32_e32 v3, 16, v3
	v_cmp_ne_u32_e64 s2, 0, v2
	s_delay_alu instid0(VALU_DEP_1) | instskip(NEXT) | instid1(VALU_DEP_1)
	v_cndmask_b32_e64 v2, 0, 1, s2
	v_and_or_b32 v4, 0xffe, v4, v2
	v_sub_nc_u32_e32 v2, 0x3f1, v20
	s_delay_alu instid0(VALU_DEP_2) | instskip(NEXT) | instid1(VALU_DEP_2)
	v_or_b32_e32 v31, 0x1000, v4
	v_med3_i32 v2, v2, 0, 13
	s_delay_alu instid0(VALU_DEP_1) | instskip(NEXT) | instid1(VALU_DEP_1)
	v_lshrrev_b32_e32 v22, v2, v31
	v_lshlrev_b32_e32 v2, v2, v22
	s_delay_alu instid0(VALU_DEP_1) | instskip(SKIP_1) | instid1(VALU_DEP_1)
	v_cmp_ne_u32_e64 s2, v2, v31
	v_lshrrev_b32_e32 v31, 16, v138
	v_mul_f16_e32 v2, v31, v5
	v_mul_f16_e32 v31, v31, v6
	s_delay_alu instid0(VALU_DEP_2) | instskip(NEXT) | instid1(VALU_DEP_2)
	v_fmac_f16_e64 v2, v138, v6
	v_fma_f16 v31, v138, v5, -v31
	v_cvt_f32_f16_e32 v5, v24
	s_delay_alu instid0(VALU_DEP_3) | instskip(NEXT) | instid1(VALU_DEP_2)
	v_cvt_f32_f16_e32 v2, v2
	v_cvt_f64_f32_e32 v[5:6], v5
	s_delay_alu instid0(VALU_DEP_1) | instskip(NEXT) | instid1(VALU_DEP_1)
	v_mul_f64 v[5:6], v[5:6], s[10:11]
	v_and_or_b32 v5, 0x1ff, v6, v5
	v_lshrrev_b32_e32 v24, 8, v6
	s_delay_alu instid0(VALU_DEP_2) | instskip(NEXT) | instid1(VALU_DEP_1)
	v_cmp_ne_u32_e64 s3, 0, v5
	v_cndmask_b32_e64 v5, 0, 1, s3
	s_delay_alu instid0(VALU_DEP_1) | instskip(SKIP_2) | instid1(VALU_DEP_3)
	v_and_or_b32 v5, 0xffe, v24, v5
	v_bfe_u32 v24, v6, 20, 11
	v_lshrrev_b32_e32 v6, 16, v6
	v_or_b32_e32 v33, 0x1000, v5
	s_delay_alu instid0(VALU_DEP_3) | instskip(SKIP_1) | instid1(VALU_DEP_2)
	v_sub_nc_u32_e32 v32, 0x3f1, v24
	v_add_nc_u32_e32 v24, 0xfffffc10, v24
	v_med3_i32 v32, v32, 0, 13
	s_delay_alu instid0(VALU_DEP_1) | instskip(NEXT) | instid1(VALU_DEP_1)
	v_lshrrev_b32_e32 v34, v32, v33
	v_lshlrev_b32_e32 v32, v32, v34
	s_delay_alu instid0(VALU_DEP_1) | instskip(SKIP_1) | instid1(VALU_DEP_2)
	v_cmp_ne_u32_e64 s3, v32, v33
	v_lshl_or_b32 v33, v24, 12, v5
	v_cndmask_b32_e64 v32, 0, 1, s3
	v_cmp_gt_i32_e64 s3, 1, v24
	s_delay_alu instid0(VALU_DEP_2) | instskip(SKIP_2) | instid1(VALU_DEP_1)
	v_or_b32_e32 v32, v34, v32
	scratch_load_b32 v34, off, off offset:76 ; 4-byte Folded Reload
	v_cndmask_b32_e64 v32, v33, v32, s3
	v_and_b32_e32 v33, 7, v32
	s_delay_alu instid0(VALU_DEP_1) | instskip(SKIP_4) | instid1(VALU_DEP_4)
	v_cmp_lt_i32_e64 s3, 5, v33
	v_cmp_eq_u32_e64 s4, 3, v33
	v_cndmask_b32_e64 v33, 0, 1, s1
	v_cmp_ne_u32_e64 s1, 0, v5
	v_add_nc_u32_e32 v5, 0xfffffc10, v19
	s_or_b32 s3, s4, s3
	s_delay_alu instid0(VALU_DEP_3) | instskip(SKIP_1) | instid1(VALU_DEP_3)
	v_or_b32_e32 v25, v25, v33
	v_cmp_ne_u32_e64 s4, 0, v0
	v_lshl_or_b32 v19, v5, 12, v0
	v_cmp_gt_i32_e64 s5, 1, v5
	scratch_load_b32 v33, off, off offset:108 ; 4-byte Folded Reload
	v_cndmask_b32_e64 v19, v19, v25, s5
	v_lshrrev_b32_e32 v25, 2, v32
	v_cndmask_b32_e64 v32, 0, 1, s1
	v_cmp_eq_u32_e64 s1, 0x40f, v24
	s_delay_alu instid0(VALU_DEP_4) | instskip(NEXT) | instid1(VALU_DEP_4)
	v_lshrrev_b32_e32 v0, 2, v19
	v_add_co_ci_u32_e64 v25, s3, 0, v25, s3
	v_cmp_gt_i32_e64 s3, 31, v24
	v_lshl_or_b32 v32, v32, 9, 0x7c00
	s_delay_alu instid0(VALU_DEP_2) | instskip(NEXT) | instid1(VALU_DEP_1)
	v_cndmask_b32_e64 v25, 0x7c00, v25, s3
	v_cndmask_b32_e64 v24, v25, v32, s1
	v_and_b32_e32 v25, 7, v19
	v_cndmask_b32_e64 v19, 0, 1, s4
	s_delay_alu instid0(VALU_DEP_2) | instskip(SKIP_1) | instid1(VALU_DEP_3)
	v_cmp_lt_i32_e64 s1, 5, v25
	v_cmp_eq_u32_e64 s3, 3, v25
	v_lshl_or_b32 v19, v19, 9, 0x7c00
	s_delay_alu instid0(VALU_DEP_2) | instskip(NEXT) | instid1(SALU_CYCLE_1)
	s_or_b32 s1, s3, s1
	v_add_co_ci_u32_e64 v0, s1, 0, v0, s1
	v_cmp_gt_i32_e64 s1, 31, v5
	s_delay_alu instid0(VALU_DEP_1) | instskip(SKIP_2) | instid1(VALU_DEP_2)
	v_cndmask_b32_e64 v0, 0x7c00, v0, s1
	v_cmp_eq_u32_e64 s1, 0x40f, v5
	v_and_or_b32 v5, 0x8000, v6, v24
	v_cndmask_b32_e64 v0, v0, v19, s1
	v_add_co_u32 v24, s1, v28, s12
	s_delay_alu instid0(VALU_DEP_1) | instskip(NEXT) | instid1(VALU_DEP_3)
	v_add_co_ci_u32_e64 v25, s1, s13, v29, s1
	v_and_or_b32 v0, 0x8000, v1, v0
	v_and_b32_e32 v1, 0xffff, v5
	s_delay_alu instid0(VALU_DEP_1) | instskip(SKIP_2) | instid1(VALU_DEP_1)
	v_lshl_or_b32 v0, v0, 16, v1
	global_store_b32 v[28:29], v0, off
	v_cvt_f32_f16_e32 v0, v30
	v_cvt_f64_f32_e32 v[0:1], v0
	s_delay_alu instid0(VALU_DEP_1) | instskip(NEXT) | instid1(VALU_DEP_1)
	v_mul_f64 v[0:1], v[0:1], s[10:11]
	v_and_or_b32 v0, 0x1ff, v1, v0
	v_lshrrev_b32_e32 v5, 8, v1
	v_bfe_u32 v6, v1, 20, 11
	v_lshrrev_b32_e32 v1, 16, v1
	s_delay_alu instid0(VALU_DEP_4) | instskip(NEXT) | instid1(VALU_DEP_1)
	v_cmp_ne_u32_e64 s1, 0, v0
	v_cndmask_b32_e64 v0, 0, 1, s1
	s_delay_alu instid0(VALU_DEP_1) | instskip(SKIP_2) | instid1(VALU_DEP_3)
	v_and_or_b32 v0, 0xffe, v5, v0
	v_sub_nc_u32_e32 v5, 0x3f1, v6
	v_add_nc_u32_e32 v6, 0xfffffc10, v6
	v_or_b32_e32 v28, 0x1000, v0
	s_delay_alu instid0(VALU_DEP_3) | instskip(NEXT) | instid1(VALU_DEP_1)
	v_med3_i32 v5, v5, 0, 13
	v_lshrrev_b32_e32 v19, v5, v28
	s_delay_alu instid0(VALU_DEP_1) | instskip(NEXT) | instid1(VALU_DEP_1)
	v_lshlrev_b32_e32 v5, v5, v19
	v_cmp_ne_u32_e64 s1, v5, v28
	v_lshrrev_b32_e32 v28, 16, v134
	s_delay_alu instid0(VALU_DEP_1) | instskip(SKIP_1) | instid1(VALU_DEP_2)
	v_mul_f16_e32 v5, v28, v11
	v_mul_f16_e32 v28, v28, v12
	v_fmac_f16_e64 v5, v134, v12
	s_delay_alu instid0(VALU_DEP_2) | instskip(SKIP_1) | instid1(VALU_DEP_3)
	v_fma_f16 v28, v134, v11, -v28
	v_cvt_f32_f16_e32 v11, v27
	v_cvt_f32_f16_e32 v5, v5
	s_delay_alu instid0(VALU_DEP_2) | instskip(NEXT) | instid1(VALU_DEP_1)
	v_cvt_f64_f32_e32 v[11:12], v11
	v_mul_f64 v[11:12], v[11:12], s[10:11]
	s_delay_alu instid0(VALU_DEP_1) | instskip(SKIP_1) | instid1(VALU_DEP_2)
	v_and_or_b32 v11, 0x1ff, v12, v11
	v_lshrrev_b32_e32 v27, 8, v12
	v_cmp_ne_u32_e64 s3, 0, v11
	s_delay_alu instid0(VALU_DEP_1) | instskip(NEXT) | instid1(VALU_DEP_1)
	v_cndmask_b32_e64 v11, 0, 1, s3
	v_and_or_b32 v11, 0xffe, v27, v11
	v_bfe_u32 v27, v12, 20, 11
	v_lshrrev_b32_e32 v12, 16, v12
	s_delay_alu instid0(VALU_DEP_3) | instskip(NEXT) | instid1(VALU_DEP_3)
	v_or_b32_e32 v30, 0x1000, v11
	v_sub_nc_u32_e32 v29, 0x3f1, v27
	v_add_nc_u32_e32 v27, 0xfffffc10, v27
	s_delay_alu instid0(VALU_DEP_2) | instskip(NEXT) | instid1(VALU_DEP_1)
	v_med3_i32 v29, v29, 0, 13
	v_lshrrev_b32_e32 v32, v29, v30
	s_delay_alu instid0(VALU_DEP_1) | instskip(NEXT) | instid1(VALU_DEP_1)
	v_lshlrev_b32_e32 v29, v29, v32
	v_cmp_ne_u32_e64 s3, v29, v30
	v_lshl_or_b32 v30, v27, 12, v11
	s_delay_alu instid0(VALU_DEP_2) | instskip(SKIP_1) | instid1(VALU_DEP_2)
	v_cndmask_b32_e64 v29, 0, 1, s3
	v_cmp_gt_i32_e64 s3, 1, v27
	v_or_b32_e32 v29, v32, v29
	scratch_load_b32 v32, off, off offset:132 ; 4-byte Folded Reload
	v_cndmask_b32_e64 v29, v30, v29, s3
	s_delay_alu instid0(VALU_DEP_1) | instskip(NEXT) | instid1(VALU_DEP_1)
	v_and_b32_e32 v30, 7, v29
	v_cmp_lt_i32_e64 s3, 5, v30
	v_cmp_eq_u32_e64 s4, 3, v30
	v_cndmask_b32_e64 v30, 0, 1, s0
	v_cmp_ne_u32_e64 s0, 0, v11
	v_add_nc_u32_e32 v11, 0xfffffc10, v21
	s_delay_alu instid0(VALU_DEP_4) | instskip(NEXT) | instid1(VALU_DEP_3)
	s_or_b32 s3, s4, s3
	v_or_b32_e32 v23, v23, v30
	v_cmp_ne_u32_e64 s4, 0, v15
	s_delay_alu instid0(VALU_DEP_3) | instskip(SKIP_1) | instid1(VALU_DEP_1)
	v_lshl_or_b32 v21, v11, 12, v15
	v_cmp_gt_i32_e64 s5, 1, v11
	v_cndmask_b32_e64 v21, v21, v23, s5
	v_lshrrev_b32_e32 v23, 2, v29
	v_cndmask_b32_e64 v29, 0, 1, s0
	v_cmp_eq_u32_e64 s0, 0x40f, v27
	s_delay_alu instid0(VALU_DEP_4) | instskip(NEXT) | instid1(VALU_DEP_4)
	v_lshrrev_b32_e32 v15, 2, v21
	v_add_co_ci_u32_e64 v23, s3, 0, v23, s3
	v_cmp_gt_i32_e64 s3, 31, v27
	v_lshl_or_b32 v29, v29, 9, 0x7c00
	v_and_b32_e32 v27, 7, v21
	v_cndmask_b32_e64 v21, 0, 1, s4
	s_delay_alu instid0(VALU_DEP_4) | instskip(NEXT) | instid1(VALU_DEP_3)
	v_cndmask_b32_e64 v23, 0x7c00, v23, s3
	v_cmp_eq_u32_e64 s3, 3, v27
	s_delay_alu instid0(VALU_DEP_3) | instskip(NEXT) | instid1(VALU_DEP_3)
	v_lshl_or_b32 v21, v21, 9, 0x7c00
	v_cndmask_b32_e64 v23, v23, v29, s0
	v_cmp_lt_i32_e64 s0, 5, v27
	s_delay_alu instid0(VALU_DEP_2) | instskip(NEXT) | instid1(VALU_DEP_2)
	v_and_or_b32 v12, 0x8000, v12, v23
	s_or_b32 s0, s3, s0
	s_delay_alu instid0(SALU_CYCLE_1) | instskip(SKIP_1) | instid1(VALU_DEP_1)
	v_add_co_ci_u32_e64 v15, s0, 0, v15, s0
	v_cmp_gt_i32_e64 s0, 31, v11
	v_cndmask_b32_e64 v15, 0x7c00, v15, s0
	v_cmp_eq_u32_e64 s0, 0x40f, v11
	s_delay_alu instid0(VALU_DEP_1) | instskip(NEXT) | instid1(VALU_DEP_1)
	v_cndmask_b32_e64 v11, v15, v21, s0
	v_and_or_b32 v8, 0x8000, v8, v11
	v_and_b32_e32 v11, 0xffff, v12
	s_delay_alu instid0(VALU_DEP_1) | instskip(SKIP_1) | instid1(VALU_DEP_1)
	v_lshl_or_b32 v8, v8, 16, v11
	v_add_co_u32 v11, s0, v24, s12
	v_add_co_ci_u32_e64 v12, s0, s13, v25, s0
	global_store_b32 v[24:25], v8, off
	v_cvt_f32_f16_e32 v8, v31
	scratch_load_b32 v31, off, off offset:116 ; 4-byte Folded Reload
	v_cvt_f64_f32_e32 v[23:24], v8
	s_delay_alu instid0(VALU_DEP_1) | instskip(NEXT) | instid1(VALU_DEP_1)
	v_mul_f64 v[23:24], v[23:24], s[10:11]
	v_and_or_b32 v8, 0x1ff, v24, v23
	v_lshrrev_b32_e32 v15, 8, v24
	v_bfe_u32 v25, v24, 20, 11
	v_lshrrev_b32_e32 v23, 16, v131
	s_delay_alu instid0(VALU_DEP_4) | instskip(NEXT) | instid1(VALU_DEP_1)
	v_cmp_ne_u32_e64 s0, 0, v8
	v_cndmask_b32_e64 v8, 0, 1, s0
	s_delay_alu instid0(VALU_DEP_1) | instskip(SKIP_1) | instid1(VALU_DEP_2)
	v_and_or_b32 v15, 0xffe, v15, v8
	v_sub_nc_u32_e32 v8, 0x3f1, v25
	v_or_b32_e32 v21, 0x1000, v15
	s_delay_alu instid0(VALU_DEP_2) | instskip(NEXT) | instid1(VALU_DEP_1)
	v_med3_i32 v8, v8, 0, 13
	v_lshrrev_b32_e32 v27, v8, v21
	s_delay_alu instid0(VALU_DEP_1) | instskip(NEXT) | instid1(VALU_DEP_1)
	v_lshlrev_b32_e32 v8, v8, v27
	v_cmp_ne_u32_e64 s3, v8, v21
	v_mul_f16_e32 v21, v35, v26
	scratch_load_b32 v35, off, off offset:88 ; 4-byte Folded Reload
	v_fmac_f16_e64 v21, v132, v9
	v_lshrrev_b32_e32 v9, 16, v10
	s_delay_alu instid0(VALU_DEP_1) | instskip(SKIP_1) | instid1(VALU_DEP_2)
	v_mul_f16_e32 v8, v23, v9
	v_mul_f16_e32 v23, v23, v10
	v_fmac_f16_e64 v8, v131, v10
	s_delay_alu instid0(VALU_DEP_2) | instskip(SKIP_1) | instid1(VALU_DEP_1)
	v_fma_f16 v26, v131, v9, -v23
	v_cvt_f32_f16_e32 v9, v21
	v_cvt_f64_f32_e32 v[9:10], v9
	s_delay_alu instid0(VALU_DEP_1) | instskip(NEXT) | instid1(VALU_DEP_1)
	v_mul_f64 v[9:10], v[9:10], s[10:11]
	v_and_or_b32 v9, 0x1ff, v10, v9
	v_lshrrev_b32_e32 v21, 8, v10
	s_delay_alu instid0(VALU_DEP_2) | instskip(NEXT) | instid1(VALU_DEP_1)
	v_cmp_ne_u32_e64 s0, 0, v9
	v_cndmask_b32_e64 v9, 0, 1, s0
	s_delay_alu instid0(VALU_DEP_1) | instskip(SKIP_2) | instid1(VALU_DEP_3)
	v_and_or_b32 v9, 0xffe, v21, v9
	v_bfe_u32 v21, v10, 20, 11
	v_lshrrev_b32_e32 v10, 16, v10
	v_or_b32_e32 v29, 0x1000, v9
	s_delay_alu instid0(VALU_DEP_3) | instskip(SKIP_1) | instid1(VALU_DEP_2)
	v_sub_nc_u32_e32 v23, 0x3f1, v21
	v_add_nc_u32_e32 v21, 0xfffffc10, v21
	v_med3_i32 v23, v23, 0, 13
	s_delay_alu instid0(VALU_DEP_1) | instskip(NEXT) | instid1(VALU_DEP_1)
	v_lshrrev_b32_e32 v30, v23, v29
	v_lshlrev_b32_e32 v23, v23, v30
	s_delay_alu instid0(VALU_DEP_1) | instskip(SKIP_1) | instid1(VALU_DEP_2)
	v_cmp_ne_u32_e64 s0, v23, v29
	v_lshl_or_b32 v29, v21, 12, v9
	v_cndmask_b32_e64 v23, 0, 1, s0
	v_cmp_gt_i32_e64 s0, 1, v21
	s_delay_alu instid0(VALU_DEP_2) | instskip(NEXT) | instid1(VALU_DEP_1)
	v_or_b32_e32 v23, v30, v23
	v_cndmask_b32_e64 v23, v29, v23, s0
	s_delay_alu instid0(VALU_DEP_1) | instskip(NEXT) | instid1(VALU_DEP_1)
	v_and_b32_e32 v29, 7, v23
	v_cmp_lt_i32_e64 s0, 5, v29
	v_cmp_eq_u32_e64 s4, 3, v29
	v_cndmask_b32_e64 v29, 0, 1, s2
	v_cmp_ne_u32_e64 s2, 0, v9
	v_add_nc_u32_e32 v9, 0xfffffc10, v20
	s_delay_alu instid0(VALU_DEP_4) | instskip(NEXT) | instid1(VALU_DEP_3)
	s_or_b32 s0, s4, s0
	v_or_b32_e32 v22, v22, v29
	v_cmp_ne_u32_e64 s4, 0, v4
	s_delay_alu instid0(VALU_DEP_3) | instskip(SKIP_1) | instid1(VALU_DEP_1)
	v_lshl_or_b32 v20, v9, 12, v4
	v_cmp_gt_i32_e64 s5, 1, v9
	v_cndmask_b32_e64 v20, v20, v22, s5
	v_lshrrev_b32_e32 v22, 2, v23
	v_cndmask_b32_e64 v23, 0, 1, s2
	s_delay_alu instid0(VALU_DEP_3) | instskip(NEXT) | instid1(VALU_DEP_3)
	v_lshrrev_b32_e32 v4, 2, v20
	v_add_co_ci_u32_e64 v22, s0, 0, v22, s0
	v_cmp_gt_i32_e64 s0, 31, v21
	s_delay_alu instid0(VALU_DEP_4) | instskip(NEXT) | instid1(VALU_DEP_2)
	v_lshl_or_b32 v23, v23, 9, 0x7c00
	v_cndmask_b32_e64 v22, 0x7c00, v22, s0
	v_cmp_eq_u32_e64 s0, 0x40f, v21
	s_delay_alu instid0(VALU_DEP_1) | instskip(SKIP_2) | instid1(VALU_DEP_2)
	v_cndmask_b32_e64 v21, v22, v23, s0
	v_and_b32_e32 v22, 7, v20
	v_cndmask_b32_e64 v20, 0, 1, s4
	v_cmp_lt_i32_e64 s0, 5, v22
	v_cmp_eq_u32_e64 s2, 3, v22
	s_delay_alu instid0(VALU_DEP_3) | instskip(NEXT) | instid1(VALU_DEP_2)
	v_lshl_or_b32 v20, v20, 9, 0x7c00
	s_or_b32 s0, s2, s0
	s_delay_alu instid0(SALU_CYCLE_1) | instskip(SKIP_1) | instid1(VALU_DEP_1)
	v_add_co_ci_u32_e64 v4, s0, 0, v4, s0
	v_cmp_gt_i32_e64 s0, 31, v9
	v_cndmask_b32_e64 v4, 0x7c00, v4, s0
	v_cmp_eq_u32_e64 s0, 0x40f, v9
	v_and_or_b32 v9, 0x8000, v10, v21
	s_delay_alu instid0(VALU_DEP_2) | instskip(SKIP_1) | instid1(VALU_DEP_1)
	v_cndmask_b32_e64 v4, v4, v20, s0
	v_add_co_u32 v20, s0, v11, s15
	v_add_co_ci_u32_e64 v21, s0, s14, v12, s0
	s_delay_alu instid0(VALU_DEP_3) | instskip(SKIP_1) | instid1(VALU_DEP_1)
	v_and_or_b32 v3, 0x8000, v3, v4
	v_and_b32_e32 v4, 0xffff, v9
	v_lshl_or_b32 v3, v3, 16, v4
	global_store_b32 v[11:12], v3, off
	v_cvt_f32_f16_e32 v3, v28
	s_delay_alu instid0(VALU_DEP_1) | instskip(NEXT) | instid1(VALU_DEP_1)
	v_cvt_f64_f32_e32 v[3:4], v3
	v_mul_f64 v[3:4], v[3:4], s[10:11]
	s_delay_alu instid0(VALU_DEP_1) | instskip(SKIP_3) | instid1(VALU_DEP_4)
	v_and_or_b32 v3, 0x1ff, v4, v3
	v_lshrrev_b32_e32 v9, 8, v4
	v_bfe_u32 v10, v4, 20, 11
	v_lshrrev_b32_e32 v4, 16, v4
	v_cmp_ne_u32_e64 s0, 0, v3
	s_delay_alu instid0(VALU_DEP_1) | instskip(NEXT) | instid1(VALU_DEP_1)
	v_cndmask_b32_e64 v3, 0, 1, s0
	v_and_or_b32 v9, 0xffe, v9, v3
	v_sub_nc_u32_e32 v3, 0x3f1, v10
	v_add_nc_u32_e32 v10, 0xfffffc10, v10
	s_delay_alu instid0(VALU_DEP_3) | instskip(NEXT) | instid1(VALU_DEP_3)
	v_or_b32_e32 v11, 0x1000, v9
	v_med3_i32 v3, v3, 0, 13
	s_delay_alu instid0(VALU_DEP_1) | instskip(NEXT) | instid1(VALU_DEP_1)
	v_lshrrev_b32_e32 v12, v3, v11
	v_lshlrev_b32_e32 v3, v3, v12
	s_delay_alu instid0(VALU_DEP_1) | instskip(SKIP_1) | instid1(VALU_DEP_1)
	v_cmp_ne_u32_e64 s0, v3, v11
	v_cvt_f32_f16_e32 v3, v7
	v_cvt_f64_f32_e32 v[22:23], v3
	s_delay_alu instid0(VALU_DEP_1) | instskip(NEXT) | instid1(VALU_DEP_1)
	v_mul_f64 v[22:23], v[22:23], s[10:11]
	v_and_or_b32 v3, 0x1ff, v23, v22
	v_lshrrev_b32_e32 v7, 8, v23
	s_delay_alu instid0(VALU_DEP_2) | instskip(NEXT) | instid1(VALU_DEP_1)
	v_cmp_ne_u32_e64 s2, 0, v3
	v_cndmask_b32_e64 v3, 0, 1, s2
	s_delay_alu instid0(VALU_DEP_1) | instskip(SKIP_1) | instid1(VALU_DEP_2)
	v_and_or_b32 v3, 0xffe, v7, v3
	v_bfe_u32 v7, v23, 20, 11
	v_or_b32_e32 v22, 0x1000, v3
	s_delay_alu instid0(VALU_DEP_2) | instskip(SKIP_2) | instid1(VALU_DEP_3)
	v_sub_nc_u32_e32 v11, 0x3f1, v7
	v_add_nc_u32_e32 v7, 0xfffffc10, v7
	v_cmp_ne_u32_e64 s4, 0, v3
	v_med3_i32 v11, v11, 0, 13
	s_delay_alu instid0(VALU_DEP_1) | instskip(NEXT) | instid1(VALU_DEP_1)
	v_lshrrev_b32_e32 v28, v11, v22
	v_lshlrev_b32_e32 v11, v11, v28
	s_delay_alu instid0(VALU_DEP_1) | instskip(SKIP_1) | instid1(VALU_DEP_2)
	v_cmp_ne_u32_e64 s2, v11, v22
	v_lshl_or_b32 v22, v7, 12, v3
	v_cndmask_b32_e64 v11, 0, 1, s2
	v_cmp_gt_i32_e64 s2, 1, v7
	s_delay_alu instid0(VALU_DEP_2) | instskip(NEXT) | instid1(VALU_DEP_1)
	v_or_b32_e32 v11, v28, v11
	v_cndmask_b32_e64 v11, v22, v11, s2
	v_cndmask_b32_e64 v22, 0, 1, s1
	v_cmp_gt_i32_e64 s1, 1, v6
	s_delay_alu instid0(VALU_DEP_2) | instskip(SKIP_1) | instid1(VALU_DEP_1)
	v_or_b32_e32 v19, v19, v22
	v_lshl_or_b32 v22, v6, 12, v0
	v_cndmask_b32_e64 v19, v22, v19, s1
	v_and_b32_e32 v22, 7, v11
	s_delay_alu instid0(VALU_DEP_2) | instskip(NEXT) | instid1(VALU_DEP_2)
	v_and_b32_e32 v3, 7, v19
	v_cmp_lt_i32_e64 s1, 5, v22
	v_cmp_eq_u32_e64 s2, 3, v22
	s_delay_alu instid0(VALU_DEP_3) | instskip(SKIP_2) | instid1(VALU_DEP_4)
	v_cmp_lt_i32_e64 s5, 5, v3
	v_cmp_eq_u32_e64 s6, 3, v3
	v_lshrrev_b32_e32 v3, 2, v11
	s_or_b32 s1, s2, s1
	v_cndmask_b32_e64 v11, 0, 1, s4
	s_delay_alu instid0(VALU_DEP_3) | instskip(NEXT) | instid1(VALU_DEP_2)
	s_or_b32 s2, s6, s5
	v_add_co_ci_u32_e64 v3, s1, 0, v3, s1
	v_cmp_gt_i32_e64 s1, 31, v7
	s_delay_alu instid0(VALU_DEP_3) | instskip(NEXT) | instid1(VALU_DEP_2)
	v_lshl_or_b32 v11, v11, 9, 0x7c00
	v_cndmask_b32_e64 v3, 0x7c00, v3, s1
	v_cmp_eq_u32_e64 s1, 0x40f, v7
	v_lshrrev_b32_e32 v7, 16, v23
	s_delay_alu instid0(VALU_DEP_2) | instskip(SKIP_2) | instid1(VALU_DEP_3)
	v_cndmask_b32_e64 v3, v3, v11, s1
	v_cmp_ne_u32_e64 s1, 0, v0
	v_lshrrev_b32_e32 v0, 2, v19
	v_and_or_b32 v3, 0x8000, v7, v3
	s_delay_alu instid0(VALU_DEP_3) | instskip(NEXT) | instid1(VALU_DEP_3)
	v_cndmask_b32_e64 v11, 0, 1, s1
	v_add_co_ci_u32_e64 v0, s2, 0, v0, s2
	v_cmp_gt_i32_e64 s2, 31, v6
	v_cmp_eq_u32_e64 s1, 0x40f, v6
	s_delay_alu instid0(VALU_DEP_4) | instskip(NEXT) | instid1(VALU_DEP_3)
	v_lshl_or_b32 v11, v11, 9, 0x7c00
	v_cndmask_b32_e64 v0, 0x7c00, v0, s2
	s_delay_alu instid0(VALU_DEP_1) | instskip(NEXT) | instid1(VALU_DEP_1)
	v_cndmask_b32_e64 v0, v0, v11, s1
	v_and_or_b32 v0, 0x8000, v1, v0
	v_and_b32_e32 v1, 0xffff, v3
	v_cvt_f64_f32_e32 v[2:3], v2
	s_delay_alu instid0(VALU_DEP_2) | instskip(SKIP_2) | instid1(VALU_DEP_1)
	v_lshl_or_b32 v0, v0, 16, v1
	global_store_b32 v[20:21], v0, off
	v_add_co_u32 v0, s1, v20, s12
	v_add_co_ci_u32_e64 v1, s1, s13, v21, s1
	v_mul_f64 v[2:3], v[2:3], s[10:11]
	s_delay_alu instid0(VALU_DEP_1) | instskip(SKIP_1) | instid1(VALU_DEP_2)
	v_and_or_b32 v2, 0x1ff, v3, v2
	v_lshrrev_b32_e32 v6, 8, v3
	v_cmp_ne_u32_e64 s1, 0, v2
	s_delay_alu instid0(VALU_DEP_1) | instskip(NEXT) | instid1(VALU_DEP_1)
	v_cndmask_b32_e64 v2, 0, 1, s1
	v_and_or_b32 v2, 0xffe, v6, v2
	v_bfe_u32 v6, v3, 20, 11
	v_lshrrev_b32_e32 v3, 16, v3
	s_delay_alu instid0(VALU_DEP_3) | instskip(NEXT) | instid1(VALU_DEP_3)
	v_or_b32_e32 v11, 0x1000, v2
	v_sub_nc_u32_e32 v7, 0x3f1, v6
	v_add_nc_u32_e32 v6, 0xfffffc10, v6
	s_delay_alu instid0(VALU_DEP_2) | instskip(NEXT) | instid1(VALU_DEP_1)
	v_med3_i32 v7, v7, 0, 13
	v_lshrrev_b32_e32 v19, v7, v11
	s_delay_alu instid0(VALU_DEP_1) | instskip(NEXT) | instid1(VALU_DEP_1)
	v_lshlrev_b32_e32 v7, v7, v19
	v_cmp_ne_u32_e64 s1, v7, v11
	v_lshl_or_b32 v11, v6, 12, v2
	s_delay_alu instid0(VALU_DEP_2) | instskip(SKIP_1) | instid1(VALU_DEP_2)
	v_cndmask_b32_e64 v7, 0, 1, s1
	v_cmp_gt_i32_e64 s1, 1, v6
	v_or_b32_e32 v7, v19, v7
	v_add_nc_u32_e32 v19, 0xfffffc10, v25
	s_delay_alu instid0(VALU_DEP_2) | instskip(SKIP_1) | instid1(VALU_DEP_3)
	v_cndmask_b32_e64 v7, v11, v7, s1
	v_cndmask_b32_e64 v11, 0, 1, s3
	v_lshl_or_b32 v20, v19, 12, v15
	v_cmp_gt_i32_e64 s1, 1, v19
	v_cmp_ne_u32_e64 s3, 0, v2
	s_delay_alu instid0(VALU_DEP_4) | instskip(NEXT) | instid1(VALU_DEP_1)
	v_or_b32_e32 v11, v27, v11
	v_cndmask_b32_e64 v11, v20, v11, s1
	v_and_b32_e32 v20, 7, v7
	s_delay_alu instid0(VALU_DEP_2) | instskip(NEXT) | instid1(VALU_DEP_2)
	v_and_b32_e32 v2, 7, v11
	v_cmp_lt_i32_e64 s1, 5, v20
	v_cmp_eq_u32_e64 s2, 3, v20
	s_delay_alu instid0(VALU_DEP_3) | instskip(SKIP_2) | instid1(VALU_DEP_4)
	v_cmp_lt_i32_e64 s4, 5, v2
	v_cmp_eq_u32_e64 s5, 3, v2
	v_lshrrev_b32_e32 v2, 2, v7
	s_or_b32 s1, s2, s1
	v_cndmask_b32_e64 v7, 0, 1, s3
	s_delay_alu instid0(VALU_DEP_3) | instskip(NEXT) | instid1(VALU_DEP_2)
	s_or_b32 s2, s5, s4
	v_add_co_ci_u32_e64 v2, s1, 0, v2, s1
	v_cmp_gt_i32_e64 s1, 31, v6
	s_delay_alu instid0(VALU_DEP_3) | instskip(NEXT) | instid1(VALU_DEP_2)
	v_lshl_or_b32 v7, v7, 9, 0x7c00
	v_cndmask_b32_e64 v2, 0x7c00, v2, s1
	v_cmp_eq_u32_e64 s1, 0x40f, v6
	v_lshrrev_b32_e32 v6, 2, v11
	s_delay_alu instid0(VALU_DEP_2) | instskip(SKIP_1) | instid1(VALU_DEP_3)
	v_cndmask_b32_e64 v2, v2, v7, s1
	v_cmp_ne_u32_e64 s1, 0, v15
	v_add_co_ci_u32_e64 v6, s2, 0, v6, s2
	v_cmp_gt_i32_e64 s2, 31, v19
	s_delay_alu instid0(VALU_DEP_4) | instskip(NEXT) | instid1(VALU_DEP_4)
	v_and_or_b32 v2, 0x8000, v3, v2
	v_cndmask_b32_e64 v7, 0, 1, s1
	v_cmp_eq_u32_e64 s1, 0x40f, v19
	s_delay_alu instid0(VALU_DEP_4) | instskip(NEXT) | instid1(VALU_DEP_4)
	v_cndmask_b32_e64 v6, 0x7c00, v6, s2
	v_and_b32_e32 v2, 0xffff, v2
	s_delay_alu instid0(VALU_DEP_4) | instskip(NEXT) | instid1(VALU_DEP_1)
	v_lshl_or_b32 v7, v7, 9, 0x7c00
	v_cndmask_b32_e64 v6, v6, v7, s1
	v_lshrrev_b32_e32 v7, 16, v24
	v_add_co_u32 v23, s1, v0, s12
	s_delay_alu instid0(VALU_DEP_1) | instskip(NEXT) | instid1(VALU_DEP_3)
	v_add_co_ci_u32_e64 v24, s1, s13, v1, s1
	v_and_or_b32 v3, 0x8000, v7, v6
	s_delay_alu instid0(VALU_DEP_1) | instskip(SKIP_2) | instid1(VALU_DEP_1)
	v_lshl_or_b32 v2, v3, 16, v2
	global_store_b32 v[0:1], v2, off
	v_cvt_f32_f16_e32 v0, v26
	v_cvt_f64_f32_e32 v[0:1], v0
	s_delay_alu instid0(VALU_DEP_1) | instskip(NEXT) | instid1(VALU_DEP_1)
	v_mul_f64 v[6:7], v[0:1], s[10:11]
	v_and_or_b32 v0, 0x1ff, v7, v6
	v_lshrrev_b32_e32 v1, 8, v7
	v_bfe_u32 v19, v7, 20, 11
	v_lshrrev_b32_e32 v7, 16, v7
	s_delay_alu instid0(VALU_DEP_4) | instskip(NEXT) | instid1(VALU_DEP_1)
	v_cmp_ne_u32_e64 s1, 0, v0
	v_cndmask_b32_e64 v0, 0, 1, s1
	s_delay_alu instid0(VALU_DEP_1) | instskip(SKIP_2) | instid1(VALU_DEP_3)
	v_and_or_b32 v15, 0xffe, v1, v0
	v_sub_nc_u32_e32 v0, 0x3f1, v19
	v_add_nc_u32_e32 v19, 0xfffffc10, v19
	v_or_b32_e32 v1, 0x1000, v15
	s_delay_alu instid0(VALU_DEP_3) | instskip(NEXT) | instid1(VALU_DEP_1)
	v_med3_i32 v0, v0, 0, 13
	v_lshrrev_b32_e32 v20, v0, v1
	s_delay_alu instid0(VALU_DEP_1) | instskip(NEXT) | instid1(VALU_DEP_1)
	v_lshlrev_b32_e32 v0, v0, v20
	v_cmp_ne_u32_e64 s3, v0, v1
	ds_load_2addr_b32 v[0:1], v65 offset0:96 offset1:152
	s_waitcnt lgkmcnt(0)
	v_lshrrev_b32_e32 v11, 16, v0
	s_waitcnt vmcnt(2)
	v_mul_f16_e32 v2, v32, v0
	s_waitcnt vmcnt(1)
	s_delay_alu instid0(VALU_DEP_1) | instskip(NEXT) | instid1(VALU_DEP_1)
	v_fma_f16 v2, v31, v11, -v2
	v_cvt_f32_f16_e32 v2, v2
	s_delay_alu instid0(VALU_DEP_1) | instskip(NEXT) | instid1(VALU_DEP_1)
	v_cvt_f64_f32_e32 v[2:3], v2
	v_mul_f64 v[2:3], v[2:3], s[10:11]
	s_delay_alu instid0(VALU_DEP_1) | instskip(SKIP_2) | instid1(VALU_DEP_3)
	v_and_or_b32 v2, 0x1ff, v3, v2
	v_lshrrev_b32_e32 v6, 8, v3
	v_bfe_u32 v21, v3, 20, 11
	v_cmp_ne_u32_e64 s1, 0, v2
	s_delay_alu instid0(VALU_DEP_1) | instskip(NEXT) | instid1(VALU_DEP_1)
	v_cndmask_b32_e64 v2, 0, 1, s1
	v_and_or_b32 v2, 0xffe, v6, v2
	s_delay_alu instid0(VALU_DEP_4) | instskip(SKIP_1) | instid1(VALU_DEP_3)
	v_sub_nc_u32_e32 v6, 0x3f1, v21
	v_add_nc_u32_e32 v21, 0xfffffc10, v21
	v_or_b32_e32 v25, 0x1000, v2
	s_delay_alu instid0(VALU_DEP_3) | instskip(NEXT) | instid1(VALU_DEP_1)
	v_med3_i32 v6, v6, 0, 13
	v_lshrrev_b32_e32 v22, v6, v25
	s_delay_alu instid0(VALU_DEP_1) | instskip(NEXT) | instid1(VALU_DEP_1)
	v_lshlrev_b32_e32 v6, v6, v22
	v_cmp_ne_u32_e64 s1, v6, v25
	v_cvt_f64_f32_e32 v[5:6], v5
	s_delay_alu instid0(VALU_DEP_1) | instskip(NEXT) | instid1(VALU_DEP_1)
	v_mul_f64 v[5:6], v[5:6], s[10:11]
	v_and_or_b32 v5, 0x1ff, v6, v5
	v_lshrrev_b32_e32 v25, 8, v6
	s_delay_alu instid0(VALU_DEP_2) | instskip(NEXT) | instid1(VALU_DEP_1)
	v_cmp_ne_u32_e64 s2, 0, v5
	v_cndmask_b32_e64 v5, 0, 1, s2
	s_delay_alu instid0(VALU_DEP_1) | instskip(SKIP_2) | instid1(VALU_DEP_3)
	v_and_or_b32 v5, 0xffe, v25, v5
	v_bfe_u32 v25, v6, 20, 11
	v_lshrrev_b32_e32 v6, 16, v6
	v_or_b32_e32 v27, 0x1000, v5
	s_delay_alu instid0(VALU_DEP_3) | instskip(SKIP_2) | instid1(VALU_DEP_3)
	v_sub_nc_u32_e32 v26, 0x3f1, v25
	v_add_nc_u32_e32 v25, 0xfffffc10, v25
	v_cmp_ne_u32_e64 s4, 0, v5
	v_med3_i32 v26, v26, 0, 13
	s_delay_alu instid0(VALU_DEP_1) | instskip(NEXT) | instid1(VALU_DEP_1)
	v_lshrrev_b32_e32 v28, v26, v27
	v_lshlrev_b32_e32 v26, v26, v28
	s_delay_alu instid0(VALU_DEP_1) | instskip(SKIP_1) | instid1(VALU_DEP_2)
	v_cmp_ne_u32_e64 s2, v26, v27
	v_lshl_or_b32 v27, v25, 12, v5
	v_cndmask_b32_e64 v26, 0, 1, s2
	v_cmp_gt_i32_e64 s2, 1, v25
	s_delay_alu instid0(VALU_DEP_2) | instskip(NEXT) | instid1(VALU_DEP_1)
	v_or_b32_e32 v26, v28, v26
	v_cndmask_b32_e64 v26, v27, v26, s2
	v_cndmask_b32_e64 v27, 0, 1, s0
	v_cmp_gt_i32_e64 s0, 1, v10
	s_delay_alu instid0(VALU_DEP_2) | instskip(SKIP_1) | instid1(VALU_DEP_1)
	v_or_b32_e32 v12, v12, v27
	v_lshl_or_b32 v27, v10, 12, v9
	v_cndmask_b32_e64 v12, v27, v12, s0
	v_and_b32_e32 v27, 7, v26
	s_delay_alu instid0(VALU_DEP_2) | instskip(NEXT) | instid1(VALU_DEP_2)
	v_and_b32_e32 v5, 7, v12
	v_cmp_lt_i32_e64 s0, 5, v27
	v_cmp_eq_u32_e64 s2, 3, v27
	s_delay_alu instid0(VALU_DEP_3) | instskip(SKIP_2) | instid1(VALU_DEP_4)
	v_cmp_lt_i32_e64 s5, 5, v5
	v_cmp_eq_u32_e64 s6, 3, v5
	v_lshrrev_b32_e32 v5, 2, v26
	s_or_b32 s0, s2, s0
	v_cndmask_b32_e64 v26, 0, 1, s4
	s_delay_alu instid0(VALU_DEP_3) | instskip(NEXT) | instid1(VALU_DEP_2)
	s_or_b32 s2, s6, s5
	v_add_co_ci_u32_e64 v5, s0, 0, v5, s0
	v_cmp_gt_i32_e64 s0, 31, v25
	s_delay_alu instid0(VALU_DEP_3) | instskip(NEXT) | instid1(VALU_DEP_2)
	v_lshl_or_b32 v26, v26, 9, 0x7c00
	v_cndmask_b32_e64 v5, 0x7c00, v5, s0
	v_cmp_eq_u32_e64 s0, 0x40f, v25
	s_delay_alu instid0(VALU_DEP_1) | instskip(SKIP_2) | instid1(VALU_DEP_3)
	v_cndmask_b32_e64 v5, v5, v26, s0
	v_cmp_ne_u32_e64 s0, 0, v9
	v_lshrrev_b32_e32 v9, 2, v12
	v_and_or_b32 v5, 0x8000, v6, v5
	s_delay_alu instid0(VALU_DEP_3) | instskip(NEXT) | instid1(VALU_DEP_3)
	v_cndmask_b32_e64 v12, 0, 1, s0
	v_add_co_ci_u32_e64 v9, s2, 0, v9, s2
	v_cmp_gt_i32_e64 s2, 31, v10
	v_cmp_eq_u32_e64 s0, 0x40f, v10
	s_delay_alu instid0(VALU_DEP_4) | instskip(SKIP_1) | instid1(VALU_DEP_4)
	v_lshl_or_b32 v12, v12, 9, 0x7c00
	v_and_b32_e32 v5, 0xffff, v5
	v_cndmask_b32_e64 v9, 0x7c00, v9, s2
	s_delay_alu instid0(VALU_DEP_1) | instskip(SKIP_1) | instid1(VALU_DEP_1)
	v_cndmask_b32_e64 v9, v9, v12, s0
	v_add_co_u32 v26, s0, v23, s12
	v_add_co_ci_u32_e64 v27, s0, s13, v24, s0
	s_delay_alu instid0(VALU_DEP_3) | instskip(NEXT) | instid1(VALU_DEP_1)
	v_and_or_b32 v4, 0x8000, v4, v9
	v_lshl_or_b32 v4, v4, 16, v5
	global_store_b32 v[23:24], v4, off
	v_add_nc_u32_e32 v4, 0xa00, v98
	ds_load_2addr_b32 v[9:10], v4 offset0:74 offset1:130
	s_waitcnt lgkmcnt(0)
	v_lshrrev_b32_e32 v30, 16, v9
	v_mul_f16_e32 v4, v38, v9
	s_delay_alu instid0(VALU_DEP_1) | instskip(NEXT) | instid1(VALU_DEP_1)
	v_fma_f16 v4, v33, v30, -v4
	v_cvt_f32_f16_e32 v4, v4
	s_delay_alu instid0(VALU_DEP_1) | instskip(NEXT) | instid1(VALU_DEP_1)
	v_cvt_f64_f32_e32 v[4:5], v4
	v_mul_f64 v[5:6], v[4:5], s[10:11]
	s_delay_alu instid0(VALU_DEP_1) | instskip(SKIP_3) | instid1(VALU_DEP_4)
	v_and_or_b32 v4, 0x1ff, v6, v5
	v_lshrrev_b32_e32 v5, 8, v6
	v_bfe_u32 v24, v6, 20, 11
	v_lshrrev_b32_e32 v6, 16, v6
	v_cmp_ne_u32_e64 s0, 0, v4
	s_delay_alu instid0(VALU_DEP_1) | instskip(NEXT) | instid1(VALU_DEP_1)
	v_cndmask_b32_e64 v4, 0, 1, s0
	v_and_or_b32 v23, 0xffe, v5, v4
	v_sub_nc_u32_e32 v4, 0x3f1, v24
	s_delay_alu instid0(VALU_DEP_2) | instskip(NEXT) | instid1(VALU_DEP_2)
	v_or_b32_e32 v5, 0x1000, v23
	v_med3_i32 v4, v4, 0, 13
	s_delay_alu instid0(VALU_DEP_1) | instskip(NEXT) | instid1(VALU_DEP_1)
	v_lshrrev_b32_e32 v25, v4, v5
	v_lshlrev_b32_e32 v4, v4, v25
	s_delay_alu instid0(VALU_DEP_1) | instskip(SKIP_1) | instid1(VALU_DEP_1)
	v_cmp_ne_u32_e64 s2, v4, v5
	v_cvt_f32_f16_e32 v4, v8
	v_cvt_f64_f32_e32 v[4:5], v4
	s_delay_alu instid0(VALU_DEP_1) | instskip(NEXT) | instid1(VALU_DEP_1)
	v_mul_f64 v[4:5], v[4:5], s[10:11]
	v_and_or_b32 v4, 0x1ff, v5, v4
	v_lshrrev_b32_e32 v8, 8, v5
	s_delay_alu instid0(VALU_DEP_2) | instskip(NEXT) | instid1(VALU_DEP_1)
	v_cmp_ne_u32_e64 s0, 0, v4
	v_cndmask_b32_e64 v4, 0, 1, s0
	s_delay_alu instid0(VALU_DEP_1) | instskip(SKIP_2) | instid1(VALU_DEP_3)
	v_and_or_b32 v4, 0xffe, v8, v4
	v_bfe_u32 v8, v5, 20, 11
	v_lshrrev_b32_e32 v5, 16, v5
	v_or_b32_e32 v28, 0x1000, v4
	s_delay_alu instid0(VALU_DEP_3) | instskip(SKIP_2) | instid1(VALU_DEP_3)
	v_sub_nc_u32_e32 v12, 0x3f1, v8
	v_add_nc_u32_e32 v8, 0xfffffc10, v8
	v_cmp_ne_u32_e64 s5, 0, v4
	v_med3_i32 v12, v12, 0, 13
	s_delay_alu instid0(VALU_DEP_1) | instskip(NEXT) | instid1(VALU_DEP_1)
	v_lshrrev_b32_e32 v29, v12, v28
	v_lshlrev_b32_e32 v12, v12, v29
	s_delay_alu instid0(VALU_DEP_1) | instskip(SKIP_3) | instid1(VALU_DEP_4)
	v_cmp_ne_u32_e64 s0, v12, v28
	v_lshl_or_b32 v28, v8, 12, v4
	v_cndmask_b32_e64 v4, 0, 1, s3
	v_cmp_gt_i32_e64 s3, 1, v19
	v_cndmask_b32_e64 v12, 0, 1, s0
	v_cmp_gt_i32_e64 s0, 1, v8
	s_delay_alu instid0(VALU_DEP_4) | instskip(SKIP_1) | instid1(VALU_DEP_4)
	v_or_b32_e32 v4, v20, v4
	v_lshl_or_b32 v20, v19, 12, v15
	v_or_b32_e32 v12, v29, v12
	s_delay_alu instid0(VALU_DEP_2) | instskip(SKIP_1) | instid1(VALU_DEP_3)
	v_cndmask_b32_e64 v4, v20, v4, s3
	v_cndmask_b32_e64 v20, 0, 1, s5
	;; [unrolled: 1-line block ×3, first 2 shown]
	s_delay_alu instid0(VALU_DEP_2) | instskip(NEXT) | instid1(VALU_DEP_2)
	v_lshl_or_b32 v20, v20, 9, 0x7c00
	v_and_b32_e32 v28, 7, v12
	v_lshrrev_b32_e32 v12, 2, v12
	s_delay_alu instid0(VALU_DEP_2) | instskip(SKIP_1) | instid1(VALU_DEP_1)
	v_cmp_lt_i32_e64 s0, 5, v28
	v_cmp_eq_u32_e64 s4, 3, v28
	s_or_b32 s0, s4, s0
	v_cmp_ne_u32_e64 s4, 0, v15
	v_add_co_ci_u32_e64 v12, s0, 0, v12, s0
	v_cmp_gt_i32_e64 s0, 31, v8
	s_delay_alu instid0(VALU_DEP_1) | instskip(SKIP_1) | instid1(VALU_DEP_1)
	v_cndmask_b32_e64 v12, 0x7c00, v12, s0
	v_cmp_eq_u32_e64 s0, 0x40f, v8
	v_cndmask_b32_e64 v8, v12, v20, s0
	v_and_b32_e32 v12, 7, v4
	v_lshrrev_b32_e32 v4, 2, v4
	s_delay_alu instid0(VALU_DEP_3) | instskip(NEXT) | instid1(VALU_DEP_3)
	v_and_or_b32 v5, 0x8000, v5, v8
	v_cmp_lt_i32_e64 s0, 5, v12
	v_cmp_eq_u32_e64 s3, 3, v12
	v_cndmask_b32_e64 v12, 0, 1, s4
	s_delay_alu instid0(VALU_DEP_4) | instskip(NEXT) | instid1(VALU_DEP_3)
	v_and_b32_e32 v5, 0xffff, v5
	s_or_b32 s0, s3, s0
	s_delay_alu instid0(VALU_DEP_2) | instskip(SKIP_2) | instid1(VALU_DEP_1)
	v_lshl_or_b32 v12, v12, 9, 0x7c00
	v_add_co_ci_u32_e64 v4, s0, 0, v4, s0
	v_cmp_gt_i32_e64 s0, 31, v19
	v_cndmask_b32_e64 v4, 0x7c00, v4, s0
	v_cmp_eq_u32_e64 s0, 0x40f, v19
	s_delay_alu instid0(VALU_DEP_1) | instskip(SKIP_1) | instid1(VALU_DEP_1)
	v_cndmask_b32_e64 v4, v4, v12, s0
	v_add_co_u32 v28, s0, v26, s15
	v_add_co_ci_u32_e64 v29, s0, s14, v27, s0
	s_delay_alu instid0(VALU_DEP_3)
	v_and_or_b32 v4, 0x8000, v7, v4
	ds_load_2addr_b32 v[7:8], v56 offset0:180 offset1:236
	v_lshl_or_b32 v4, v4, 16, v5
	global_store_b32 v[26:27], v4, off
	scratch_load_b32 v27, off, off offset:112 ; 4-byte Folded Reload
	s_waitcnt lgkmcnt(0)
	v_lshrrev_b32_e32 v26, 16, v7
	v_mul_f16_e32 v4, v37, v7
	s_delay_alu instid0(VALU_DEP_1) | instskip(NEXT) | instid1(VALU_DEP_1)
	v_fma_f16 v4, v36, v26, -v4
	v_cvt_f32_f16_e32 v4, v4
	s_delay_alu instid0(VALU_DEP_1) | instskip(NEXT) | instid1(VALU_DEP_1)
	v_cvt_f64_f32_e32 v[4:5], v4
	v_mul_f64 v[4:5], v[4:5], s[10:11]
	s_delay_alu instid0(VALU_DEP_1) | instskip(SKIP_3) | instid1(VALU_DEP_4)
	v_and_or_b32 v4, 0x1ff, v5, v4
	v_lshrrev_b32_e32 v12, 8, v5
	v_bfe_u32 v19, v5, 20, 11
	v_lshrrev_b32_e32 v5, 16, v5
	v_cmp_ne_u32_e64 s0, 0, v4
	s_delay_alu instid0(VALU_DEP_1) | instskip(NEXT) | instid1(VALU_DEP_1)
	v_cndmask_b32_e64 v4, 0, 1, s0
	v_and_or_b32 v15, 0xffe, v12, v4
	v_sub_nc_u32_e32 v4, 0x3f1, v19
	v_add_nc_u32_e32 v19, 0xfffffc10, v19
	s_delay_alu instid0(VALU_DEP_3) | instskip(NEXT) | instid1(VALU_DEP_3)
	v_or_b32_e32 v12, 0x1000, v15
	v_med3_i32 v4, v4, 0, 13
	s_delay_alu instid0(VALU_DEP_1) | instskip(NEXT) | instid1(VALU_DEP_1)
	v_lshrrev_b32_e32 v20, v4, v12
	v_lshlrev_b32_e32 v4, v4, v20
	s_delay_alu instid0(VALU_DEP_1)
	v_cmp_ne_u32_e64 s0, v4, v12
	v_mul_f16_e32 v4, v32, v11
	scratch_load_b32 v11, off, off offset:128 ; 4-byte Folded Reload
	v_fmac_f16_e32 v4, v31, v0
	v_lshrrev_b32_e32 v0, 16, v1
	s_waitcnt vmcnt(0)
	s_delay_alu instid0(VALU_DEP_1) | instskip(SKIP_1) | instid1(VALU_DEP_2)
	v_mul_f16_e32 v12, v11, v0
	v_mul_f16_e32 v11, v11, v1
	v_fmac_f16_e32 v12, v27, v1
	s_delay_alu instid0(VALU_DEP_2) | instskip(SKIP_1) | instid1(VALU_DEP_1)
	v_fma_f16 v31, v27, v0, -v11
	v_cvt_f32_f16_e32 v0, v4
	v_cvt_f64_f32_e32 v[0:1], v0
	s_delay_alu instid0(VALU_DEP_1) | instskip(NEXT) | instid1(VALU_DEP_1)
	v_mul_f64 v[0:1], v[0:1], s[10:11]
	v_and_or_b32 v0, 0x1ff, v1, v0
	v_lshrrev_b32_e32 v4, 8, v1
	s_delay_alu instid0(VALU_DEP_2) | instskip(NEXT) | instid1(VALU_DEP_1)
	v_cmp_ne_u32_e64 s3, 0, v0
	v_cndmask_b32_e64 v0, 0, 1, s3
	s_delay_alu instid0(VALU_DEP_1) | instskip(SKIP_2) | instid1(VALU_DEP_3)
	v_and_or_b32 v0, 0xffe, v4, v0
	v_bfe_u32 v4, v1, 20, 11
	v_lshrrev_b32_e32 v1, 16, v1
	v_or_b32_e32 v27, 0x1000, v0
	s_delay_alu instid0(VALU_DEP_3) | instskip(SKIP_2) | instid1(VALU_DEP_3)
	v_sub_nc_u32_e32 v11, 0x3f1, v4
	v_add_nc_u32_e32 v4, 0xfffffc10, v4
	v_cmp_ne_u32_e64 s5, 0, v0
	v_med3_i32 v11, v11, 0, 13
	s_delay_alu instid0(VALU_DEP_1) | instskip(NEXT) | instid1(VALU_DEP_1)
	v_lshrrev_b32_e32 v32, v11, v27
	v_lshlrev_b32_e32 v11, v11, v32
	s_delay_alu instid0(VALU_DEP_1) | instskip(SKIP_3) | instid1(VALU_DEP_4)
	v_cmp_ne_u32_e64 s3, v11, v27
	v_lshl_or_b32 v27, v4, 12, v0
	v_cndmask_b32_e64 v0, 0, 1, s1
	v_cmp_gt_i32_e64 s1, 1, v21
	v_cndmask_b32_e64 v11, 0, 1, s3
	v_cmp_gt_i32_e64 s3, 1, v4
	s_delay_alu instid0(VALU_DEP_4) | instskip(SKIP_1) | instid1(VALU_DEP_4)
	v_or_b32_e32 v0, v22, v0
	v_lshl_or_b32 v22, v21, 12, v2
	v_or_b32_e32 v11, v32, v11
	s_delay_alu instid0(VALU_DEP_2) | instskip(SKIP_1) | instid1(VALU_DEP_3)
	v_cndmask_b32_e64 v0, v22, v0, s1
	v_cndmask_b32_e64 v22, 0, 1, s5
	;; [unrolled: 1-line block ×3, first 2 shown]
	s_delay_alu instid0(VALU_DEP_2) | instskip(NEXT) | instid1(VALU_DEP_2)
	v_lshl_or_b32 v22, v22, 9, 0x7c00
	v_and_b32_e32 v27, 7, v11
	v_lshrrev_b32_e32 v11, 2, v11
	s_delay_alu instid0(VALU_DEP_2) | instskip(SKIP_1) | instid1(VALU_DEP_1)
	v_cmp_lt_i32_e64 s3, 5, v27
	v_cmp_eq_u32_e64 s4, 3, v27
	s_or_b32 s1, s4, s3
	v_cmp_ne_u32_e64 s4, 0, v2
	v_add_co_ci_u32_e64 v11, s1, 0, v11, s1
	v_cmp_gt_i32_e64 s1, 31, v4
	s_delay_alu instid0(VALU_DEP_3) | instskip(NEXT) | instid1(VALU_DEP_2)
	v_cndmask_b32_e64 v2, 0, 1, s4
	v_cndmask_b32_e64 v11, 0x7c00, v11, s1
	v_cmp_eq_u32_e64 s1, 0x40f, v4
	s_delay_alu instid0(VALU_DEP_3) | instskip(NEXT) | instid1(VALU_DEP_2)
	v_lshl_or_b32 v2, v2, 9, 0x7c00
	v_cndmask_b32_e64 v4, v11, v22, s1
	v_and_b32_e32 v11, 7, v0
	v_lshrrev_b32_e32 v0, 2, v0
	s_delay_alu instid0(VALU_DEP_3) | instskip(NEXT) | instid1(VALU_DEP_3)
	v_and_or_b32 v1, 0x8000, v1, v4
	v_cmp_lt_i32_e64 s1, 5, v11
	v_cmp_eq_u32_e64 s3, 3, v11
	s_delay_alu instid0(VALU_DEP_3) | instskip(NEXT) | instid1(VALU_DEP_2)
	v_and_b32_e32 v1, 0xffff, v1
	s_or_b32 s1, s3, s1
	s_delay_alu instid0(SALU_CYCLE_1) | instskip(SKIP_1) | instid1(VALU_DEP_1)
	v_add_co_ci_u32_e64 v0, s1, 0, v0, s1
	v_cmp_gt_i32_e64 s1, 31, v21
	v_cndmask_b32_e64 v0, 0x7c00, v0, s1
	v_cmp_eq_u32_e64 s1, 0x40f, v21
	s_delay_alu instid0(VALU_DEP_1) | instskip(SKIP_3) | instid1(VALU_DEP_1)
	v_cndmask_b32_e64 v0, v0, v2, s1
	v_lshrrev_b32_e32 v2, 16, v3
	ds_load_2addr_b32 v[3:4], v18 offset0:158 offset1:214
	v_and_or_b32 v0, 0x8000, v2, v0
	v_lshl_or_b32 v0, v0, 16, v1
	global_store_b32 v[28:29], v0, off
	v_add_co_u32 v28, s1, v28, s12
	s_delay_alu instid0(VALU_DEP_1) | instskip(SKIP_3) | instid1(VALU_DEP_1)
	v_add_co_ci_u32_e64 v29, s1, s13, v29, s1
	s_waitcnt lgkmcnt(0)
	v_lshrrev_b32_e32 v27, 16, v3
	v_mul_f16_e32 v0, v35, v3
	v_fma_f16 v0, v34, v27, -v0
	s_delay_alu instid0(VALU_DEP_1) | instskip(NEXT) | instid1(VALU_DEP_1)
	v_cvt_f32_f16_e32 v0, v0
	v_cvt_f64_f32_e32 v[0:1], v0
	s_delay_alu instid0(VALU_DEP_1) | instskip(NEXT) | instid1(VALU_DEP_1)
	v_mul_f64 v[1:2], v[0:1], s[10:11]
	v_and_or_b32 v0, 0x1ff, v2, v1
	v_lshrrev_b32_e32 v1, 8, v2
	v_bfe_u32 v21, v2, 20, 11
	v_lshrrev_b32_e32 v2, 16, v2
	s_delay_alu instid0(VALU_DEP_4) | instskip(NEXT) | instid1(VALU_DEP_1)
	v_cmp_ne_u32_e64 s1, 0, v0
	v_cndmask_b32_e64 v0, 0, 1, s1
	s_delay_alu instid0(VALU_DEP_1) | instskip(SKIP_1) | instid1(VALU_DEP_2)
	v_and_or_b32 v18, 0xffe, v1, v0
	v_sub_nc_u32_e32 v0, 0x3f1, v21
	v_or_b32_e32 v1, 0x1000, v18
	s_delay_alu instid0(VALU_DEP_2) | instskip(NEXT) | instid1(VALU_DEP_1)
	v_med3_i32 v0, v0, 0, 13
	v_lshrrev_b32_e32 v22, v0, v1
	s_delay_alu instid0(VALU_DEP_1) | instskip(NEXT) | instid1(VALU_DEP_1)
	v_lshlrev_b32_e32 v0, v0, v22
	v_cmp_ne_u32_e64 s1, v0, v1
	v_mul_f16_e32 v0, v38, v30
	scratch_load_b32 v30, off, off offset:100 ; 4-byte Folded Reload
	v_lshrrev_b32_e32 v1, 16, v10
	v_fmac_f16_e32 v0, v33, v9
	scratch_load_b32 v9, off, off offset:120 ; 4-byte Folded Reload
	v_cvt_f32_f16_e32 v0, v0
	s_waitcnt vmcnt(0)
	v_mul_f16_e32 v11, v9, v1
	v_mul_f16_e32 v9, v9, v10
	s_delay_alu instid0(VALU_DEP_2) | instskip(NEXT) | instid1(VALU_DEP_2)
	v_fmac_f16_e32 v11, v30, v10
	v_fma_f16 v30, v30, v1, -v9
	v_cvt_f64_f32_e32 v[0:1], v0
	s_delay_alu instid0(VALU_DEP_1) | instskip(NEXT) | instid1(VALU_DEP_1)
	v_mul_f64 v[0:1], v[0:1], s[10:11]
	v_and_or_b32 v0, 0x1ff, v1, v0
	v_lshrrev_b32_e32 v9, 8, v1
	s_delay_alu instid0(VALU_DEP_2) | instskip(NEXT) | instid1(VALU_DEP_1)
	v_cmp_ne_u32_e64 s3, 0, v0
	v_cndmask_b32_e64 v0, 0, 1, s3
	s_delay_alu instid0(VALU_DEP_1) | instskip(SKIP_2) | instid1(VALU_DEP_3)
	v_and_or_b32 v0, 0xffe, v9, v0
	v_bfe_u32 v9, v1, 20, 11
	v_lshrrev_b32_e32 v1, 16, v1
	v_or_b32_e32 v32, 0x1000, v0
	s_delay_alu instid0(VALU_DEP_3) | instskip(SKIP_1) | instid1(VALU_DEP_2)
	v_sub_nc_u32_e32 v10, 0x3f1, v9
	v_add_nc_u32_e32 v9, 0xfffffc10, v9
	v_med3_i32 v10, v10, 0, 13
	s_delay_alu instid0(VALU_DEP_1) | instskip(NEXT) | instid1(VALU_DEP_1)
	v_lshrrev_b32_e32 v33, v10, v32
	v_lshlrev_b32_e32 v10, v10, v33
	s_delay_alu instid0(VALU_DEP_1) | instskip(SKIP_1) | instid1(VALU_DEP_2)
	v_cmp_ne_u32_e64 s3, v10, v32
	v_lshl_or_b32 v32, v9, 12, v0
	v_cndmask_b32_e64 v10, 0, 1, s3
	v_cmp_gt_i32_e64 s3, 1, v9
	s_delay_alu instid0(VALU_DEP_2) | instskip(NEXT) | instid1(VALU_DEP_1)
	v_or_b32_e32 v10, v33, v10
	v_cndmask_b32_e64 v10, v32, v10, s3
	s_delay_alu instid0(VALU_DEP_1) | instskip(SKIP_1) | instid1(VALU_DEP_2)
	v_and_b32_e32 v32, 7, v10
	v_lshrrev_b32_e32 v10, 2, v10
	v_cmp_lt_i32_e64 s3, 5, v32
	v_cmp_eq_u32_e64 s4, 3, v32
	v_cndmask_b32_e64 v32, 0, 1, s2
	v_cmp_ne_u32_e64 s2, 0, v0
	v_add_nc_u32_e32 v0, 0xfffffc10, v24
	s_delay_alu instid0(VALU_DEP_4) | instskip(NEXT) | instid1(VALU_DEP_3)
	s_or_b32 s3, s4, s3
	v_or_b32_e32 v25, v25, v32
	v_add_co_ci_u32_e64 v10, s3, 0, v10, s3
	s_delay_alu instid0(VALU_DEP_3) | instskip(SKIP_3) | instid1(VALU_DEP_3)
	v_lshl_or_b32 v24, v0, 12, v23
	v_cmp_gt_i32_e64 s5, 1, v0
	v_cmp_gt_i32_e64 s3, 31, v9
	v_cmp_ne_u32_e64 s4, 0, v23
	v_cndmask_b32_e64 v24, v24, v25, s5
	v_cndmask_b32_e64 v25, 0, 1, s2
	s_delay_alu instid0(VALU_DEP_4) | instskip(SKIP_2) | instid1(VALU_DEP_4)
	v_cndmask_b32_e64 v10, 0x7c00, v10, s3
	v_cmp_eq_u32_e64 s2, 0x40f, v9
	v_cndmask_b32_e64 v23, 0, 1, s4
	v_lshl_or_b32 v25, v25, 9, 0x7c00
	s_delay_alu instid0(VALU_DEP_2) | instskip(NEXT) | instid1(VALU_DEP_2)
	v_lshl_or_b32 v23, v23, 9, 0x7c00
	v_cndmask_b32_e64 v9, v10, v25, s2
	v_and_b32_e32 v10, 7, v24
	s_delay_alu instid0(VALU_DEP_2) | instskip(NEXT) | instid1(VALU_DEP_2)
	v_and_or_b32 v1, 0x8000, v1, v9
	v_cmp_lt_i32_e64 s2, 5, v10
	v_cmp_eq_u32_e64 s3, 3, v10
	v_lshrrev_b32_e32 v10, 2, v24
	s_delay_alu instid0(VALU_DEP_4) | instskip(NEXT) | instid1(VALU_DEP_3)
	v_and_b32_e32 v1, 0xffff, v1
	s_or_b32 s2, s3, s2
	s_delay_alu instid0(VALU_DEP_2) | instid1(SALU_CYCLE_1)
	v_add_co_ci_u32_e64 v10, s2, 0, v10, s2
	v_cmp_gt_i32_e64 s2, 31, v0
	s_delay_alu instid0(VALU_DEP_1) | instskip(SKIP_1) | instid1(VALU_DEP_1)
	v_cndmask_b32_e64 v10, 0x7c00, v10, s2
	v_cmp_eq_u32_e64 s2, 0x40f, v0
	v_cndmask_b32_e64 v0, v10, v23, s2
	s_delay_alu instid0(VALU_DEP_1) | instskip(SKIP_1) | instid1(VALU_DEP_2)
	v_and_or_b32 v0, 0x8000, v6, v0
	v_cvt_f32_f16_e32 v6, v31
	v_lshl_or_b32 v0, v0, 16, v1
	s_delay_alu instid0(VALU_DEP_2) | instskip(SKIP_2) | instid1(VALU_DEP_1)
	v_cvt_f64_f32_e32 v[9:10], v6
	global_store_b32 v[28:29], v0, off
	v_add_co_u32 v0, s2, v28, s12
	v_add_co_ci_u32_e64 v1, s2, s13, v29, s2
	scratch_load_b32 v28, off, off offset:84 ; 4-byte Folded Reload
	v_mul_f64 v[9:10], v[9:10], s[10:11]
	s_delay_alu instid0(VALU_DEP_1) | instskip(SKIP_3) | instid1(VALU_DEP_4)
	v_and_or_b32 v6, 0x1ff, v10, v9
	v_lshrrev_b32_e32 v9, 8, v10
	v_bfe_u32 v24, v10, 20, 11
	v_lshrrev_b32_e32 v10, 16, v10
	v_cmp_ne_u32_e64 s2, 0, v6
	s_delay_alu instid0(VALU_DEP_1) | instskip(NEXT) | instid1(VALU_DEP_1)
	v_cndmask_b32_e64 v6, 0, 1, s2
	v_and_or_b32 v23, 0xffe, v9, v6
	v_sub_nc_u32_e32 v6, 0x3f1, v24
	s_delay_alu instid0(VALU_DEP_2) | instskip(NEXT) | instid1(VALU_DEP_2)
	v_or_b32_e32 v9, 0x1000, v23
	v_med3_i32 v6, v6, 0, 13
	s_delay_alu instid0(VALU_DEP_1) | instskip(NEXT) | instid1(VALU_DEP_1)
	v_lshrrev_b32_e32 v25, v6, v9
	v_lshlrev_b32_e32 v6, v6, v25
	s_delay_alu instid0(VALU_DEP_1)
	v_cmp_ne_u32_e64 s2, v6, v9
	v_mul_f16_e32 v9, v37, v26
	scratch_load_b32 v26, off, off offset:96 ; 4-byte Folded Reload
	v_fmac_f16_e32 v9, v36, v7
	v_lshrrev_b32_e32 v7, 16, v8
	scratch_load_b32 v36, off, off offset:32 ; 4-byte Folded Reload
	s_waitcnt vmcnt(1)
	v_mul_f16_e32 v6, v26, v7
	v_mul_f16_e32 v26, v26, v8
	s_delay_alu instid0(VALU_DEP_2) | instskip(NEXT) | instid1(VALU_DEP_2)
	v_fmac_f16_e32 v6, v28, v8
	v_fma_f16 v26, v28, v7, -v26
	v_cvt_f32_f16_e32 v7, v9
	s_delay_alu instid0(VALU_DEP_1) | instskip(NEXT) | instid1(VALU_DEP_1)
	v_cvt_f64_f32_e32 v[7:8], v7
	v_mul_f64 v[7:8], v[7:8], s[10:11]
	s_delay_alu instid0(VALU_DEP_1) | instskip(SKIP_1) | instid1(VALU_DEP_2)
	v_and_or_b32 v7, 0x1ff, v8, v7
	v_lshrrev_b32_e32 v9, 8, v8
	v_cmp_ne_u32_e64 s3, 0, v7
	s_delay_alu instid0(VALU_DEP_1) | instskip(NEXT) | instid1(VALU_DEP_1)
	v_cndmask_b32_e64 v7, 0, 1, s3
	v_and_or_b32 v7, 0xffe, v9, v7
	v_bfe_u32 v9, v8, 20, 11
	v_lshrrev_b32_e32 v8, 16, v8
	s_delay_alu instid0(VALU_DEP_3) | instskip(NEXT) | instid1(VALU_DEP_3)
	v_or_b32_e32 v29, 0x1000, v7
	v_sub_nc_u32_e32 v28, 0x3f1, v9
	v_add_nc_u32_e32 v9, 0xfffffc10, v9
	v_cmp_ne_u32_e64 s4, 0, v7
	s_delay_alu instid0(VALU_DEP_3) | instskip(NEXT) | instid1(VALU_DEP_1)
	v_med3_i32 v28, v28, 0, 13
	v_lshrrev_b32_e32 v31, v28, v29
	s_delay_alu instid0(VALU_DEP_1) | instskip(NEXT) | instid1(VALU_DEP_1)
	v_lshlrev_b32_e32 v28, v28, v31
	v_cmp_ne_u32_e64 s3, v28, v29
	v_lshl_or_b32 v29, v9, 12, v7
	s_delay_alu instid0(VALU_DEP_2) | instskip(SKIP_1) | instid1(VALU_DEP_2)
	v_cndmask_b32_e64 v28, 0, 1, s3
	v_cmp_gt_i32_e64 s3, 1, v9
	v_or_b32_e32 v28, v31, v28
	scratch_load_b32 v31, off, off offset:72 ; 4-byte Folded Reload
	v_cndmask_b32_e64 v28, v29, v28, s3
	v_cndmask_b32_e64 v29, 0, 1, s0
	v_cmp_gt_i32_e64 s0, 1, v19
	s_delay_alu instid0(VALU_DEP_2) | instskip(SKIP_1) | instid1(VALU_DEP_1)
	v_or_b32_e32 v20, v20, v29
	v_lshl_or_b32 v29, v19, 12, v15
	v_cndmask_b32_e64 v20, v29, v20, s0
	v_and_b32_e32 v29, 7, v28
	s_delay_alu instid0(VALU_DEP_2) | instskip(NEXT) | instid1(VALU_DEP_2)
	v_and_b32_e32 v7, 7, v20
	v_cmp_lt_i32_e64 s0, 5, v29
	v_cmp_eq_u32_e64 s3, 3, v29
	s_delay_alu instid0(VALU_DEP_3) | instskip(SKIP_2) | instid1(VALU_DEP_4)
	v_cmp_lt_i32_e64 s5, 5, v7
	v_cmp_eq_u32_e64 s6, 3, v7
	v_lshrrev_b32_e32 v7, 2, v28
	s_or_b32 s0, s3, s0
	v_cndmask_b32_e64 v28, 0, 1, s4
	s_delay_alu instid0(VALU_DEP_3) | instskip(NEXT) | instid1(VALU_DEP_2)
	s_or_b32 s3, s6, s5
	v_add_co_ci_u32_e64 v7, s0, 0, v7, s0
	v_cmp_gt_i32_e64 s0, 31, v9
	s_delay_alu instid0(VALU_DEP_3) | instskip(NEXT) | instid1(VALU_DEP_2)
	v_lshl_or_b32 v28, v28, 9, 0x7c00
	v_cndmask_b32_e64 v7, 0x7c00, v7, s0
	v_cmp_eq_u32_e64 s0, 0x40f, v9
	v_lshrrev_b32_e32 v9, 2, v20
	s_delay_alu instid0(VALU_DEP_2) | instskip(SKIP_1) | instid1(VALU_DEP_3)
	v_cndmask_b32_e64 v7, v7, v28, s0
	v_cmp_ne_u32_e64 s0, 0, v15
	v_add_co_ci_u32_e64 v9, s3, 0, v9, s3
	v_cmp_gt_i32_e64 s3, 31, v19
	s_delay_alu instid0(VALU_DEP_4) | instskip(NEXT) | instid1(VALU_DEP_4)
	v_and_or_b32 v7, 0x8000, v8, v7
	v_cndmask_b32_e64 v15, 0, 1, s0
	v_cmp_eq_u32_e64 s0, 0x40f, v19
	s_delay_alu instid0(VALU_DEP_4) | instskip(NEXT) | instid1(VALU_DEP_4)
	v_cndmask_b32_e64 v9, 0x7c00, v9, s3
	v_and_b32_e32 v7, 0xffff, v7
	s_delay_alu instid0(VALU_DEP_4) | instskip(NEXT) | instid1(VALU_DEP_1)
	v_lshl_or_b32 v15, v15, 9, 0x7c00
	v_cndmask_b32_e64 v9, v9, v15, s0
	s_delay_alu instid0(VALU_DEP_1) | instskip(NEXT) | instid1(VALU_DEP_1)
	v_and_or_b32 v5, 0x8000, v5, v9
	v_lshl_or_b32 v5, v5, 16, v7
	v_add_co_u32 v7, s0, v0, s12
	s_delay_alu instid0(VALU_DEP_1) | instskip(SKIP_2) | instid1(VALU_DEP_1)
	v_add_co_ci_u32_e64 v8, s0, s13, v1, s0
	global_store_b32 v[0:1], v5, off
	v_cvt_f32_f16_e32 v0, v30
	v_cvt_f64_f32_e32 v[0:1], v0
	s_delay_alu instid0(VALU_DEP_1) | instskip(NEXT) | instid1(VALU_DEP_1)
	v_mul_f64 v[0:1], v[0:1], s[10:11]
	v_and_or_b32 v0, 0x1ff, v1, v0
	v_lshrrev_b32_e32 v5, 8, v1
	v_bfe_u32 v9, v1, 20, 11
	v_lshrrev_b32_e32 v1, 16, v1
	s_delay_alu instid0(VALU_DEP_4) | instskip(NEXT) | instid1(VALU_DEP_1)
	v_cmp_ne_u32_e64 s0, 0, v0
	v_cndmask_b32_e64 v0, 0, 1, s0
	s_delay_alu instid0(VALU_DEP_1) | instskip(SKIP_1) | instid1(VALU_DEP_2)
	v_and_or_b32 v0, 0xffe, v5, v0
	v_sub_nc_u32_e32 v5, 0x3f1, v9
	v_or_b32_e32 v19, 0x1000, v0
	s_delay_alu instid0(VALU_DEP_2) | instskip(NEXT) | instid1(VALU_DEP_1)
	v_med3_i32 v5, v5, 0, 13
	v_lshrrev_b32_e32 v15, v5, v19
	s_delay_alu instid0(VALU_DEP_1) | instskip(NEXT) | instid1(VALU_DEP_1)
	v_lshlrev_b32_e32 v5, v5, v15
	v_cmp_ne_u32_e64 s0, v5, v19
	v_mul_f16_e32 v5, v35, v27
	v_lshrrev_b32_e32 v19, 16, v4
	s_clause 0x1
	scratch_load_b32 v35, off, off offset:44
	scratch_load_b32 v37, off, off offset:36
	v_fmac_f16_e32 v5, v34, v3
	scratch_load_b32 v3, off, off offset:80 ; 4-byte Folded Reload
	s_waitcnt vmcnt(0)
	v_mul_f16_e32 v20, v3, v19
	v_mul_f16_e32 v27, v3, v4
	v_cvt_f32_f16_e32 v3, v5
	s_delay_alu instid0(VALU_DEP_3) | instskip(NEXT) | instid1(VALU_DEP_2)
	v_fmac_f16_e32 v20, v31, v4
	v_cvt_f64_f32_e32 v[3:4], v3
	s_delay_alu instid0(VALU_DEP_1) | instskip(NEXT) | instid1(VALU_DEP_1)
	v_mul_f64 v[3:4], v[3:4], s[10:11]
	v_and_or_b32 v3, 0x1ff, v4, v3
	v_lshrrev_b32_e32 v5, 8, v4
	s_delay_alu instid0(VALU_DEP_2) | instskip(NEXT) | instid1(VALU_DEP_1)
	v_cmp_ne_u32_e64 s3, 0, v3
	v_cndmask_b32_e64 v3, 0, 1, s3
	s_delay_alu instid0(VALU_DEP_1) | instskip(SKIP_2) | instid1(VALU_DEP_3)
	v_and_or_b32 v3, 0xffe, v5, v3
	v_bfe_u32 v5, v4, 20, 11
	v_lshrrev_b32_e32 v4, 16, v4
	v_or_b32_e32 v29, 0x1000, v3
	s_delay_alu instid0(VALU_DEP_3) | instskip(SKIP_1) | instid1(VALU_DEP_2)
	v_sub_nc_u32_e32 v28, 0x3f1, v5
	v_add_nc_u32_e32 v5, 0xfffffc10, v5
	v_med3_i32 v28, v28, 0, 13
	s_delay_alu instid0(VALU_DEP_1) | instskip(NEXT) | instid1(VALU_DEP_1)
	v_lshrrev_b32_e32 v30, v28, v29
	v_lshlrev_b32_e32 v28, v28, v30
	s_delay_alu instid0(VALU_DEP_1) | instskip(SKIP_1) | instid1(VALU_DEP_2)
	v_cmp_ne_u32_e64 s3, v28, v29
	v_lshl_or_b32 v29, v5, 12, v3
	v_cndmask_b32_e64 v28, 0, 1, s3
	v_cmp_gt_i32_e64 s3, 1, v5
	s_delay_alu instid0(VALU_DEP_2) | instskip(NEXT) | instid1(VALU_DEP_1)
	v_or_b32_e32 v28, v30, v28
	v_cndmask_b32_e64 v28, v29, v28, s3
	s_delay_alu instid0(VALU_DEP_1) | instskip(NEXT) | instid1(VALU_DEP_1)
	v_and_b32_e32 v29, 7, v28
	v_cmp_lt_i32_e64 s3, 5, v29
	v_cmp_eq_u32_e64 s4, 3, v29
	v_cndmask_b32_e64 v29, 0, 1, s1
	v_cmp_ne_u32_e64 s1, 0, v3
	v_add_nc_u32_e32 v3, 0xfffffc10, v21
	s_delay_alu instid0(VALU_DEP_4) | instskip(NEXT) | instid1(VALU_DEP_3)
	s_or_b32 s3, s4, s3
	v_or_b32_e32 v22, v22, v29
	v_cmp_ne_u32_e64 s4, 0, v18
	s_delay_alu instid0(VALU_DEP_3) | instskip(SKIP_1) | instid1(VALU_DEP_1)
	v_lshl_or_b32 v21, v3, 12, v18
	v_cmp_gt_i32_e64 s5, 1, v3
	v_cndmask_b32_e64 v21, v21, v22, s5
	v_lshrrev_b32_e32 v22, 2, v28
	v_cndmask_b32_e64 v28, 0, 1, s1
	v_cmp_eq_u32_e64 s1, 0x40f, v5
	s_delay_alu instid0(VALU_DEP_4) | instskip(NEXT) | instid1(VALU_DEP_4)
	v_lshrrev_b32_e32 v18, 2, v21
	v_add_co_ci_u32_e64 v22, s3, 0, v22, s3
	v_cmp_gt_i32_e64 s3, 31, v5
	v_lshl_or_b32 v28, v28, 9, 0x7c00
	s_delay_alu instid0(VALU_DEP_2) | instskip(NEXT) | instid1(VALU_DEP_1)
	v_cndmask_b32_e64 v22, 0x7c00, v22, s3
	v_cndmask_b32_e64 v5, v22, v28, s1
	v_and_b32_e32 v22, 7, v21
	v_cndmask_b32_e64 v21, 0, 1, s4
	s_delay_alu instid0(VALU_DEP_3) | instskip(NEXT) | instid1(VALU_DEP_3)
	v_and_or_b32 v4, 0x8000, v4, v5
	v_cmp_lt_i32_e64 s1, 5, v22
	v_cmp_eq_u32_e64 s3, 3, v22
	s_delay_alu instid0(VALU_DEP_4) | instskip(NEXT) | instid1(VALU_DEP_2)
	v_lshl_or_b32 v21, v21, 9, 0x7c00
	s_or_b32 s1, s3, s1
	s_delay_alu instid0(SALU_CYCLE_1) | instskip(SKIP_1) | instid1(VALU_DEP_1)
	v_add_co_ci_u32_e64 v18, s1, 0, v18, s1
	v_cmp_gt_i32_e64 s1, 31, v3
	v_cndmask_b32_e64 v18, 0x7c00, v18, s1
	v_cmp_eq_u32_e64 s1, 0x40f, v3
	s_delay_alu instid0(VALU_DEP_1) | instskip(NEXT) | instid1(VALU_DEP_1)
	v_cndmask_b32_e64 v3, v18, v21, s1
	v_and_or_b32 v2, 0x8000, v2, v3
	v_and_b32_e32 v3, 0xffff, v4
	s_delay_alu instid0(VALU_DEP_1) | instskip(SKIP_3) | instid1(VALU_DEP_1)
	v_lshl_or_b32 v2, v2, 16, v3
	global_store_b32 v[7:8], v2, off
	v_cvt_f32_f16_e32 v2, v12
	v_add_co_u32 v7, s1, v7, s15
	v_add_co_ci_u32_e64 v8, s1, s14, v8, s1
	s_delay_alu instid0(VALU_DEP_3) | instskip(NEXT) | instid1(VALU_DEP_1)
	v_cvt_f64_f32_e32 v[2:3], v2
	v_mul_f64 v[2:3], v[2:3], s[10:11]
	s_delay_alu instid0(VALU_DEP_1) | instskip(SKIP_2) | instid1(VALU_DEP_3)
	v_and_or_b32 v2, 0x1ff, v3, v2
	v_lshrrev_b32_e32 v4, 8, v3
	v_lshrrev_b32_e32 v22, 16, v3
	v_cmp_ne_u32_e64 s1, 0, v2
	s_delay_alu instid0(VALU_DEP_1) | instskip(NEXT) | instid1(VALU_DEP_1)
	v_cndmask_b32_e64 v2, 0, 1, s1
	v_and_or_b32 v2, 0xffe, v4, v2
	v_bfe_u32 v4, v3, 20, 11
	s_delay_alu instid0(VALU_DEP_2) | instskip(NEXT) | instid1(VALU_DEP_2)
	v_or_b32_e32 v12, 0x1000, v2
	v_sub_nc_u32_e32 v5, 0x3f1, v4
	v_add_nc_u32_e32 v4, 0xfffffc10, v4
	v_cmp_ne_u32_e64 s3, 0, v2
	s_delay_alu instid0(VALU_DEP_3) | instskip(NEXT) | instid1(VALU_DEP_1)
	v_med3_i32 v5, v5, 0, 13
	v_lshrrev_b32_e32 v18, v5, v12
	s_delay_alu instid0(VALU_DEP_1) | instskip(NEXT) | instid1(VALU_DEP_1)
	v_lshlrev_b32_e32 v5, v5, v18
	v_cmp_ne_u32_e64 s1, v5, v12
	v_lshl_or_b32 v12, v4, 12, v2
	s_delay_alu instid0(VALU_DEP_2) | instskip(SKIP_1) | instid1(VALU_DEP_2)
	v_cndmask_b32_e64 v5, 0, 1, s1
	v_cmp_gt_i32_e64 s1, 1, v4
	v_or_b32_e32 v5, v18, v5
	v_add_nc_u32_e32 v18, 0xfffffc10, v24
	s_delay_alu instid0(VALU_DEP_2) | instskip(SKIP_1) | instid1(VALU_DEP_3)
	v_cndmask_b32_e64 v5, v12, v5, s1
	v_cndmask_b32_e64 v12, 0, 1, s2
	v_lshl_or_b32 v21, v18, 12, v23
	v_cmp_gt_i32_e64 s1, 1, v18
	s_delay_alu instid0(VALU_DEP_3) | instskip(NEXT) | instid1(VALU_DEP_1)
	v_or_b32_e32 v12, v25, v12
	v_cndmask_b32_e64 v12, v21, v12, s1
	v_and_b32_e32 v21, 7, v5
	s_delay_alu instid0(VALU_DEP_2) | instskip(NEXT) | instid1(VALU_DEP_2)
	v_and_b32_e32 v2, 7, v12
	v_cmp_lt_i32_e64 s1, 5, v21
	v_cmp_eq_u32_e64 s2, 3, v21
	s_delay_alu instid0(VALU_DEP_3) | instskip(SKIP_2) | instid1(VALU_DEP_4)
	v_cmp_lt_i32_e64 s4, 5, v2
	v_cmp_eq_u32_e64 s5, 3, v2
	v_lshrrev_b32_e32 v2, 2, v5
	s_or_b32 s1, s2, s1
	v_cndmask_b32_e64 v5, 0, 1, s3
	s_delay_alu instid0(VALU_DEP_2) | instskip(SKIP_1) | instid1(VALU_DEP_3)
	v_add_co_ci_u32_e64 v2, s1, 0, v2, s1
	v_cmp_gt_i32_e64 s1, 31, v4
	v_lshl_or_b32 v5, v5, 9, 0x7c00
	s_delay_alu instid0(VALU_DEP_2) | instskip(SKIP_2) | instid1(VALU_DEP_2)
	v_cndmask_b32_e64 v2, 0x7c00, v2, s1
	v_cmp_eq_u32_e64 s1, 0x40f, v4
	v_cvt_f32_f16_e32 v4, v26
	v_cndmask_b32_e64 v21, v2, v5, s1
	v_lshrrev_b32_e32 v2, 2, v12
	s_or_b32 s1, s5, s4
	s_delay_alu instid0(VALU_DEP_1) | instid1(SALU_CYCLE_1)
	v_add_co_ci_u32_e64 v2, s1, 0, v2, s1
	v_cmp_ne_u32_e64 s1, 0, v23
	s_delay_alu instid0(VALU_DEP_1) | instskip(SKIP_1) | instid1(VALU_DEP_2)
	v_cndmask_b32_e64 v3, 0, 1, s1
	v_cmp_gt_i32_e64 s1, 31, v18
	v_lshl_or_b32 v12, v3, 9, 0x7c00
	s_delay_alu instid0(VALU_DEP_2)
	v_cndmask_b32_e64 v5, 0x7c00, v2, s1
	v_cvt_f64_f32_e32 v[2:3], v4
	v_cmp_eq_u32_e64 s1, 0x40f, v18
	v_cvt_f32_f16_e32 v4, v20
	v_and_or_b32 v18, 0x8000, v22, v21
	v_fma_f16 v20, v31, v19, -v27
	s_delay_alu instid0(VALU_DEP_4) | instskip(NEXT) | instid1(VALU_DEP_4)
	v_cndmask_b32_e64 v12, v5, v12, s1
	v_cvt_f64_f32_e32 v[4:5], v4
	s_delay_alu instid0(VALU_DEP_4) | instskip(NEXT) | instid1(VALU_DEP_3)
	v_and_b32_e32 v18, 0xffff, v18
	v_and_or_b32 v10, 0x8000, v10, v12
	s_delay_alu instid0(VALU_DEP_1) | instskip(SKIP_3) | instid1(VALU_DEP_2)
	v_lshl_or_b32 v10, v10, 16, v18
	global_store_b32 v[7:8], v10, off
	v_mul_f64 v[2:3], v[2:3], s[10:11]
	v_mul_f64 v[4:5], v[4:5], s[10:11]
	v_and_or_b32 v2, 0x1ff, v3, v2
	v_lshrrev_b32_e32 v12, 8, v3
	v_bfe_u32 v25, v3, 20, 11
	s_delay_alu instid0(VALU_DEP_3) | instskip(SKIP_2) | instid1(VALU_DEP_3)
	v_cmp_ne_u32_e64 s1, 0, v2
	v_and_or_b32 v4, 0x1ff, v5, v4
	v_bfe_u32 v18, v5, 20, 11
	v_cndmask_b32_e64 v2, 0, 1, s1
	v_add_co_u32 v23, s1, v7, s12
	s_delay_alu instid0(VALU_DEP_1) | instskip(NEXT) | instid1(VALU_DEP_3)
	v_add_co_ci_u32_e64 v24, s1, s13, v8, s1
	v_and_or_b32 v26, 0xffe, v12, v2
	v_sub_nc_u32_e32 v2, 0x3f1, v25
	v_cmp_ne_u32_e64 s1, 0, v4
	v_lshrrev_b32_e32 v4, 8, v5
	v_sub_nc_u32_e32 v7, 0x3f1, v18
	v_or_b32_e32 v12, 0x1000, v26
	v_med3_i32 v2, v2, 0, 13
	s_delay_alu instid0(VALU_DEP_1) | instskip(NEXT) | instid1(VALU_DEP_1)
	v_lshrrev_b32_e32 v27, v2, v12
	v_lshlrev_b32_e32 v2, v2, v27
	s_delay_alu instid0(VALU_DEP_1) | instskip(SKIP_1) | instid1(VALU_DEP_1)
	v_cmp_ne_u32_e64 s3, v2, v12
	v_cndmask_b32_e64 v2, 0, 1, s1
	v_and_or_b32 v12, 0xffe, v4, v2
	v_med3_i32 v2, v7, 0, 13
	s_delay_alu instid0(VALU_DEP_2) | instskip(NEXT) | instid1(VALU_DEP_1)
	v_or_b32_e32 v4, 0x1000, v12
	v_lshrrev_b32_e32 v19, v2, v4
	s_delay_alu instid0(VALU_DEP_1) | instskip(NEXT) | instid1(VALU_DEP_1)
	v_lshlrev_b32_e32 v2, v2, v19
	v_cmp_ne_u32_e64 s1, v2, v4
	v_cvt_f32_f16_e32 v2, v20
	s_delay_alu instid0(VALU_DEP_1) | instskip(NEXT) | instid1(VALU_DEP_1)
	v_cvt_f64_f32_e32 v[7:8], v2
	v_mul_f64 v[7:8], v[7:8], s[10:11]
	s_delay_alu instid0(VALU_DEP_1) | instskip(SKIP_2) | instid1(VALU_DEP_3)
	v_and_or_b32 v2, 0x1ff, v8, v7
	v_lshrrev_b32_e32 v4, 8, v8
	v_bfe_u32 v21, v8, 20, 11
	v_cmp_ne_u32_e64 s2, 0, v2
	s_delay_alu instid0(VALU_DEP_1) | instskip(NEXT) | instid1(VALU_DEP_1)
	v_cndmask_b32_e64 v2, 0, 1, s2
	v_and_or_b32 v20, 0xffe, v4, v2
	s_delay_alu instid0(VALU_DEP_4) | instskip(NEXT) | instid1(VALU_DEP_2)
	v_sub_nc_u32_e32 v2, 0x3f1, v21
	v_or_b32_e32 v4, 0x1000, v20
	s_delay_alu instid0(VALU_DEP_2) | instskip(NEXT) | instid1(VALU_DEP_1)
	v_med3_i32 v2, v2, 0, 13
	v_lshrrev_b32_e32 v22, v2, v4
	s_delay_alu instid0(VALU_DEP_1) | instskip(NEXT) | instid1(VALU_DEP_1)
	v_lshlrev_b32_e32 v2, v2, v22
	v_cmp_ne_u32_e64 s2, v2, v4
	v_cvt_f32_f16_e32 v2, v11
	s_delay_alu instid0(VALU_DEP_1) | instskip(NEXT) | instid1(VALU_DEP_1)
	v_cvt_f64_f32_e32 v[10:11], v2
	v_mul_f64 v[10:11], v[10:11], s[10:11]
	s_delay_alu instid0(VALU_DEP_1) | instskip(SKIP_1) | instid1(VALU_DEP_2)
	v_and_or_b32 v2, 0x1ff, v11, v10
	v_lshrrev_b32_e32 v4, 8, v11
	v_cmp_ne_u32_e64 s4, 0, v2
	s_delay_alu instid0(VALU_DEP_1) | instskip(NEXT) | instid1(VALU_DEP_1)
	v_cndmask_b32_e64 v2, 0, 1, s4
	v_and_or_b32 v2, 0xffe, v4, v2
	v_bfe_u32 v4, v11, 20, 11
	s_delay_alu instid0(VALU_DEP_2) | instskip(NEXT) | instid1(VALU_DEP_2)
	v_or_b32_e32 v10, 0x1000, v2
	v_sub_nc_u32_e32 v7, 0x3f1, v4
	v_add_nc_u32_e32 v4, 0xfffffc10, v4
	s_delay_alu instid0(VALU_DEP_2) | instskip(NEXT) | instid1(VALU_DEP_1)
	v_med3_i32 v7, v7, 0, 13
	v_lshrrev_b32_e32 v28, v7, v10
	s_delay_alu instid0(VALU_DEP_1) | instskip(NEXT) | instid1(VALU_DEP_1)
	v_lshlrev_b32_e32 v7, v7, v28
	v_cmp_ne_u32_e64 s4, v7, v10
	v_lshl_or_b32 v10, v4, 12, v2
	s_delay_alu instid0(VALU_DEP_2) | instskip(SKIP_1) | instid1(VALU_DEP_2)
	v_cndmask_b32_e64 v7, 0, 1, s4
	v_cmp_gt_i32_e64 s4, 1, v4
	v_or_b32_e32 v7, v28, v7
	s_delay_alu instid0(VALU_DEP_1) | instskip(NEXT) | instid1(VALU_DEP_1)
	v_cndmask_b32_e64 v7, v10, v7, s4
	v_and_b32_e32 v10, 7, v7
	v_lshrrev_b32_e32 v7, 2, v7
	s_delay_alu instid0(VALU_DEP_2) | instskip(SKIP_4) | instid1(VALU_DEP_4)
	v_cmp_lt_i32_e64 s4, 5, v10
	v_cmp_eq_u32_e64 s5, 3, v10
	v_cndmask_b32_e64 v10, 0, 1, s0
	v_cmp_ne_u32_e64 s0, 0, v2
	v_add_nc_u32_e32 v2, 0xfffffc10, v9
	s_or_b32 s4, s5, s4
	s_delay_alu instid0(VALU_DEP_3) | instskip(SKIP_1) | instid1(VALU_DEP_3)
	v_or_b32_e32 v10, v15, v10
	v_add_co_ci_u32_e64 v7, s4, 0, v7, s4
	v_lshl_or_b32 v9, v2, 12, v0
	v_cmp_gt_i32_e64 s6, 1, v2
	v_cmp_gt_i32_e64 s4, 31, v4
	scratch_load_b32 v15, off, off offset:60 ; 4-byte Folded Reload
	v_cmp_ne_u32_e64 s5, 0, v0
	v_cndmask_b32_e64 v9, v9, v10, s6
	v_cndmask_b32_e64 v10, 0, 1, s0
	;; [unrolled: 1-line block ×3, first 2 shown]
	v_cmp_eq_u32_e64 s0, 0x40f, v4
	s_delay_alu instid0(VALU_DEP_4) | instskip(NEXT) | instid1(VALU_DEP_4)
	v_lshrrev_b32_e32 v0, 2, v9
	v_lshl_or_b32 v10, v10, 9, 0x7c00
	s_delay_alu instid0(VALU_DEP_1) | instskip(SKIP_2) | instid1(VALU_DEP_2)
	v_cndmask_b32_e64 v4, v7, v10, s0
	v_and_b32_e32 v7, 7, v9
	v_cndmask_b32_e64 v9, 0, 1, s5
	v_cmp_lt_i32_e64 s0, 5, v7
	v_cmp_eq_u32_e64 s4, 3, v7
	v_lshrrev_b32_e32 v7, 16, v11
	scratch_load_b32 v11, off, off offset:68 ; 4-byte Folded Reload
	v_lshl_or_b32 v9, v9, 9, 0x7c00
	s_or_b32 s0, s4, s0
	s_delay_alu instid0(SALU_CYCLE_1) | instskip(SKIP_1) | instid1(VALU_DEP_1)
	v_add_co_ci_u32_e64 v0, s0, 0, v0, s0
	v_cmp_gt_i32_e64 s0, 31, v2
	v_cndmask_b32_e64 v0, 0x7c00, v0, s0
	v_cmp_eq_u32_e64 s0, 0x40f, v2
	v_and_or_b32 v2, 0x8000, v7, v4
	v_cvt_f32_f16_e32 v4, v6
	s_delay_alu instid0(VALU_DEP_3) | instskip(NEXT) | instid1(VALU_DEP_1)
	v_cndmask_b32_e64 v0, v0, v9, s0
	v_and_or_b32 v6, 0x8000, v1, v0
	s_delay_alu instid0(VALU_DEP_3) | instskip(NEXT) | instid1(VALU_DEP_1)
	v_cvt_f64_f32_e32 v[0:1], v4
	v_mul_f64 v[9:10], v[0:1], s[10:11]
	v_and_b32_e32 v0, 0xffff, v2
	s_delay_alu instid0(VALU_DEP_1) | instskip(SKIP_2) | instid1(VALU_DEP_1)
	v_lshl_or_b32 v0, v6, 16, v0
	global_store_b32 v[23:24], v0, off
	v_add_co_u32 v23, s0, v23, s12
	v_add_co_ci_u32_e64 v24, s0, s13, v24, s0
	v_and_or_b32 v0, 0x1ff, v10, v9
	v_lshrrev_b32_e32 v1, 8, v10
	s_delay_alu instid0(VALU_DEP_2) | instskip(NEXT) | instid1(VALU_DEP_1)
	v_cmp_ne_u32_e64 s0, 0, v0
	v_cndmask_b32_e64 v0, 0, 1, s0
	s_delay_alu instid0(VALU_DEP_1) | instskip(SKIP_1) | instid1(VALU_DEP_2)
	v_and_or_b32 v4, 0xffe, v1, v0
	v_bfe_u32 v0, v10, 20, 11
	v_or_b32_e32 v2, 0x1000, v4
	s_delay_alu instid0(VALU_DEP_2) | instskip(SKIP_1) | instid1(VALU_DEP_2)
	v_sub_nc_u32_e32 v1, 0x3f1, v0
	v_cmp_ne_u32_e64 s5, 0, v4
	v_med3_i32 v1, v1, 0, 13
	s_delay_alu instid0(VALU_DEP_1) | instskip(NEXT) | instid1(VALU_DEP_1)
	v_lshrrev_b32_e32 v6, v1, v2
	v_lshlrev_b32_e32 v1, v1, v6
	s_delay_alu instid0(VALU_DEP_1)
	v_cmp_ne_u32_e64 s0, v1, v2
	ds_load_2addr_b32 v[1:2], v55 offset0:80 offset1:136
	s_waitcnt lgkmcnt(0)
	v_lshrrev_b32_e32 v7, 16, v1
	v_lshrrev_b32_e32 v32, 16, v2
	s_waitcnt vmcnt(0)
	v_mul_f16_e32 v9, v11, v1
	s_delay_alu instid0(VALU_DEP_3) | instskip(NEXT) | instid1(VALU_DEP_2)
	v_mul_f16_e32 v11, v11, v7
	v_fma_f16 v9, v15, v7, -v9
	s_delay_alu instid0(VALU_DEP_2) | instskip(SKIP_2) | instid1(VALU_DEP_2)
	v_fmac_f16_e32 v11, v15, v1
	v_cndmask_b32_e64 v1, 0, 1, s0
	v_add_nc_u32_e32 v15, 0xfffffc10, v0
	v_or_b32_e32 v1, v6, v1
	s_delay_alu instid0(VALU_DEP_2) | instskip(SKIP_1) | instid1(VALU_DEP_1)
	v_lshl_or_b32 v0, v15, 12, v4
	v_cmp_gt_i32_e64 s0, 1, v15
	v_cndmask_b32_e64 v28, v0, v1, s0
	v_cvt_f32_f16_e32 v0, v11
	s_delay_alu instid0(VALU_DEP_1) | instskip(NEXT) | instid1(VALU_DEP_1)
	v_cvt_f64_f32_e32 v[0:1], v0
	v_mul_f64 v[6:7], v[0:1], s[10:11]
	s_delay_alu instid0(VALU_DEP_1) | instskip(SKIP_2) | instid1(VALU_DEP_3)
	v_and_or_b32 v0, 0x1ff, v7, v6
	v_lshrrev_b32_e32 v1, 8, v7
	v_cndmask_b32_e64 v6, 0, 1, s5
	v_cmp_ne_u32_e64 s0, 0, v0
	s_delay_alu instid0(VALU_DEP_2) | instskip(NEXT) | instid1(VALU_DEP_2)
	v_lshl_or_b32 v6, v6, 9, 0x7c00
	v_cndmask_b32_e64 v0, 0, 1, s0
	s_delay_alu instid0(VALU_DEP_1) | instskip(SKIP_2) | instid1(VALU_DEP_2)
	v_and_or_b32 v11, 0xffe, v1, v0
	v_and_b32_e32 v0, 7, v28
	v_add_nc_u32_e32 v1, 0xfffffc10, v25
	v_cmp_lt_i32_e64 s0, 5, v0
	v_cmp_eq_u32_e64 s4, 3, v0
	v_cndmask_b32_e64 v0, 0, 1, s3
	s_delay_alu instid0(VALU_DEP_4) | instskip(SKIP_1) | instid1(VALU_DEP_4)
	v_lshl_or_b32 v4, v1, 12, v26
	v_cmp_gt_i32_e64 s3, 1, v1
	s_or_b32 s0, s4, s0
	s_delay_alu instid0(VALU_DEP_3) | instskip(SKIP_1) | instid1(VALU_DEP_2)
	v_or_b32_e32 v0, v27, v0
	v_cmp_ne_u32_e64 s4, 0, v26
	v_cndmask_b32_e64 v0, v4, v0, s3
	v_lshrrev_b32_e32 v4, 2, v28
	scratch_load_b32 v28, off, off offset:52 ; 4-byte Folded Reload
	v_add_co_ci_u32_e64 v4, s0, 0, v4, s0
	v_cmp_gt_i32_e64 s0, 31, v15
	s_delay_alu instid0(VALU_DEP_1) | instskip(SKIP_3) | instid1(VALU_DEP_3)
	v_cndmask_b32_e64 v4, 0x7c00, v4, s0
	v_cmp_eq_u32_e64 s0, 0x40f, v15
	v_bfe_u32 v15, v7, 20, 11
	v_lshrrev_b32_e32 v7, 16, v7
	v_cndmask_b32_e64 v4, v4, v6, s0
	v_lshrrev_b32_e32 v6, 16, v10
	v_and_b32_e32 v10, 7, v0
	v_lshrrev_b32_e32 v0, 2, v0
	s_delay_alu instid0(VALU_DEP_2) | instskip(SKIP_2) | instid1(VALU_DEP_2)
	v_cmp_lt_i32_e64 s0, 5, v10
	v_cmp_eq_u32_e64 s3, 3, v10
	v_cndmask_b32_e64 v10, 0, 1, s4
	s_or_b32 s0, s3, s0
	s_delay_alu instid0(VALU_DEP_1) | instskip(SKIP_2) | instid1(VALU_DEP_1)
	v_lshl_or_b32 v10, v10, 9, 0x7c00
	v_add_co_ci_u32_e64 v0, s0, 0, v0, s0
	v_cmp_gt_i32_e64 s0, 31, v1
	v_cndmask_b32_e64 v0, 0x7c00, v0, s0
	v_cmp_eq_u32_e64 s0, 0x40f, v1
	v_cvt_f32_f16_e32 v1, v9
	s_delay_alu instid0(VALU_DEP_2) | instskip(SKIP_2) | instid1(VALU_DEP_1)
	v_cndmask_b32_e64 v9, v0, v10, s0
	scratch_load_b32 v10, off, off offset:64 ; 4-byte Folded Reload
	v_cvt_f64_f32_e32 v[0:1], v1
	v_mul_f64 v[25:26], v[0:1], s[10:11]
	v_lshrrev_b32_e32 v0, 16, v3
	v_sub_nc_u32_e32 v3, 0x3f1, v15
	v_and_or_b32 v1, 0x8000, v6, v4
	v_or_b32_e32 v4, 0x1000, v11
	s_delay_alu instid0(VALU_DEP_4) | instskip(NEXT) | instid1(VALU_DEP_4)
	v_and_or_b32 v0, 0x8000, v0, v9
	v_med3_i32 v3, v3, 0, 13
	s_delay_alu instid0(VALU_DEP_4) | instskip(NEXT) | instid1(VALU_DEP_2)
	v_and_b32_e32 v1, 0xffff, v1
	v_lshrrev_b32_e32 v27, v3, v4
	s_delay_alu instid0(VALU_DEP_2) | instskip(NEXT) | instid1(VALU_DEP_2)
	v_lshl_or_b32 v0, v0, 16, v1
	v_lshlrev_b32_e32 v1, v3, v27
	global_store_b32 v[23:24], v0, off
	v_add_co_u32 v0, s0, v23, s12
	v_cmp_ne_u32_e64 s3, v1, v4
	v_add_co_ci_u32_e64 v1, s0, s13, v24, s0
	v_and_or_b32 v3, 0x1ff, v26, v25
	v_lshrrev_b32_e32 v4, 8, v26
	v_bfe_u32 v23, v26, 20, 11
	s_delay_alu instid0(VALU_DEP_3) | instskip(NEXT) | instid1(VALU_DEP_1)
	v_cmp_ne_u32_e64 s0, 0, v3
	v_cndmask_b32_e64 v3, 0, 1, s0
	s_delay_alu instid0(VALU_DEP_1) | instskip(NEXT) | instid1(VALU_DEP_4)
	v_and_or_b32 v24, 0xffe, v4, v3
	v_sub_nc_u32_e32 v3, 0x3f1, v23
	s_delay_alu instid0(VALU_DEP_2) | instskip(NEXT) | instid1(VALU_DEP_2)
	v_or_b32_e32 v4, 0x1000, v24
	v_med3_i32 v3, v3, 0, 13
	s_delay_alu instid0(VALU_DEP_1) | instskip(NEXT) | instid1(VALU_DEP_1)
	v_lshrrev_b32_e32 v25, v3, v4
	v_lshlrev_b32_e32 v3, v3, v25
	s_delay_alu instid0(VALU_DEP_1)
	v_cmp_ne_u32_e64 s0, v3, v4
	ds_load_2addr_b32 v[3:4], v53 offset0:58 offset1:114
	s_waitcnt lgkmcnt(0)
	v_lshrrev_b32_e32 v6, 16, v3
	s_waitcnt vmcnt(0)
	v_mul_f16_e32 v9, v10, v3
	s_delay_alu instid0(VALU_DEP_2) | instskip(NEXT) | instid1(VALU_DEP_2)
	v_mul_f16_e32 v10, v10, v6
	v_fma_f16 v6, v28, v6, -v9
	s_delay_alu instid0(VALU_DEP_2) | instskip(NEXT) | instid1(VALU_DEP_2)
	v_fmac_f16_e32 v10, v28, v3
	v_cvt_f32_f16_e32 v6, v6
	s_delay_alu instid0(VALU_DEP_2) | instskip(NEXT) | instid1(VALU_DEP_1)
	v_cvt_f32_f16_e32 v3, v10
	v_cvt_f64_f32_e32 v[9:10], v3
	s_delay_alu instid0(VALU_DEP_1) | instskip(NEXT) | instid1(VALU_DEP_1)
	v_mul_f64 v[9:10], v[9:10], s[10:11]
	v_and_or_b32 v3, 0x1ff, v10, v9
	v_lshrrev_b32_e32 v9, 8, v10
	s_delay_alu instid0(VALU_DEP_2) | instskip(NEXT) | instid1(VALU_DEP_1)
	v_cmp_ne_u32_e64 s4, 0, v3
	v_cndmask_b32_e64 v3, 0, 1, s4
	v_cmp_ne_u32_e64 s4, 0, v12
	s_delay_alu instid0(VALU_DEP_2) | instskip(SKIP_2) | instid1(VALU_DEP_2)
	v_and_or_b32 v28, 0xffe, v9, v3
	v_cndmask_b32_e64 v3, 0, 1, s1
	v_add_nc_u32_e32 v9, 0xfffffc10, v18
	v_or_b32_e32 v3, v19, v3
	s_delay_alu instid0(VALU_DEP_2) | instskip(SKIP_2) | instid1(VALU_DEP_2)
	v_lshl_or_b32 v18, v9, 12, v12
	v_cmp_gt_i32_e64 s1, 1, v9
	v_add_nc_u32_e32 v19, 0xfffffc10, v21
	v_cndmask_b32_e64 v3, v18, v3, s1
	v_cndmask_b32_e64 v18, 0, 1, s2
	s_delay_alu instid0(VALU_DEP_3) | instskip(SKIP_1) | instid1(VALU_DEP_3)
	v_lshl_or_b32 v21, v19, 12, v20
	v_cmp_gt_i32_e64 s1, 1, v19
	v_or_b32_e32 v18, v22, v18
	s_delay_alu instid0(VALU_DEP_1) | instskip(SKIP_2) | instid1(VALU_DEP_3)
	v_cndmask_b32_e64 v18, v21, v18, s1
	v_and_b32_e32 v21, 7, v3
	v_lshrrev_b32_e32 v3, 2, v3
	v_and_b32_e32 v12, 7, v18
	s_delay_alu instid0(VALU_DEP_3) | instskip(SKIP_1) | instid1(VALU_DEP_3)
	v_cmp_lt_i32_e64 s1, 5, v21
	v_cmp_eq_u32_e64 s2, 3, v21
	v_cmp_lt_i32_e64 s5, 5, v12
	v_cmp_eq_u32_e64 s6, 3, v12
	s_delay_alu instid0(VALU_DEP_3) | instskip(SKIP_3) | instid1(VALU_DEP_3)
	s_or_b32 s1, s2, s1
	v_cndmask_b32_e64 v12, 0, 1, s4
	v_add_co_ci_u32_e64 v3, s1, 0, v3, s1
	v_cmp_gt_i32_e64 s1, 31, v9
	v_lshl_or_b32 v12, v12, 9, 0x7c00
	s_delay_alu instid0(VALU_DEP_2) | instskip(SKIP_3) | instid1(VALU_DEP_3)
	v_cndmask_b32_e64 v3, 0x7c00, v3, s1
	v_cmp_eq_u32_e64 s1, 0x40f, v9
	v_lshrrev_b32_e32 v9, 16, v5
	v_lshrrev_b32_e32 v5, 2, v18
	v_cndmask_b32_e64 v3, v3, v12, s1
	s_or_b32 s1, s6, s5
	s_delay_alu instid0(VALU_DEP_2) | instid1(SALU_CYCLE_1)
	v_add_co_ci_u32_e64 v5, s1, 0, v5, s1
	v_cmp_ne_u32_e64 s1, 0, v20
	s_delay_alu instid0(VALU_DEP_3) | instskip(SKIP_1) | instid1(VALU_DEP_3)
	v_and_or_b32 v3, 0x8000, v9, v3
	v_or_b32_e32 v9, 0x1000, v28
	v_cndmask_b32_e64 v12, 0, 1, s1
	v_cmp_gt_i32_e64 s1, 31, v19
	s_delay_alu instid0(VALU_DEP_4) | instskip(NEXT) | instid1(VALU_DEP_3)
	v_and_b32_e32 v3, 0xffff, v3
	v_lshl_or_b32 v12, v12, 9, 0x7c00
	s_delay_alu instid0(VALU_DEP_3) | instskip(SKIP_2) | instid1(VALU_DEP_2)
	v_cndmask_b32_e64 v20, 0x7c00, v5, s1
	v_cvt_f64_f32_e32 v[5:6], v6
	v_cmp_eq_u32_e64 s1, 0x40f, v19
	v_mul_f64 v[18:19], v[5:6], s[10:11]
	s_delay_alu instid0(VALU_DEP_2) | instskip(SKIP_3) | instid1(VALU_DEP_3)
	v_cndmask_b32_e64 v5, v20, v12, s1
	v_bfe_u32 v12, v10, 20, 11
	v_lshrrev_b32_e32 v6, 16, v8
	v_lshrrev_b32_e32 v10, 16, v10
	v_sub_nc_u32_e32 v8, 0x3f1, v12
	s_delay_alu instid0(VALU_DEP_3) | instskip(NEXT) | instid1(VALU_DEP_2)
	v_and_or_b32 v5, 0x8000, v6, v5
	v_med3_i32 v8, v8, 0, 13
	s_delay_alu instid0(VALU_DEP_2) | instskip(SKIP_1) | instid1(VALU_DEP_3)
	v_lshl_or_b32 v3, v5, 16, v3
	v_add_co_u32 v5, s2, v0, s15
	v_lshrrev_b32_e32 v20, v8, v9
	global_store_b32 v[0:1], v3, off
	v_lshlrev_b32_e32 v6, v8, v20
	s_delay_alu instid0(VALU_DEP_1)
	v_cmp_ne_u32_e64 s1, v6, v9
	v_add_co_ci_u32_e64 v6, s2, s14, v1, s2
	scratch_load_b32 v9, off, off offset:56 ; 4-byte Folded Reload
	v_and_or_b32 v3, 0x1ff, v19, v18
	v_bfe_u32 v21, v19, 20, 11
	v_lshrrev_b32_e32 v1, 8, v19
	v_lshrrev_b32_e32 v19, 16, v19
	s_delay_alu instid0(VALU_DEP_4) | instskip(NEXT) | instid1(VALU_DEP_4)
	v_cmp_ne_u32_e64 s2, 0, v3
	v_sub_nc_u32_e32 v3, 0x3f1, v21
	s_delay_alu instid0(VALU_DEP_2) | instskip(NEXT) | instid1(VALU_DEP_1)
	v_cndmask_b32_e64 v0, 0, 1, s2
	v_and_or_b32 v22, 0xffe, v1, v0
	s_delay_alu instid0(VALU_DEP_3) | instskip(NEXT) | instid1(VALU_DEP_2)
	v_med3_i32 v0, v3, 0, 13
	v_or_b32_e32 v1, 0x1000, v22
	s_delay_alu instid0(VALU_DEP_1) | instskip(NEXT) | instid1(VALU_DEP_1)
	v_lshrrev_b32_e32 v29, v0, v1
	v_lshlrev_b32_e32 v0, v0, v29
	s_delay_alu instid0(VALU_DEP_1)
	v_cmp_ne_u32_e64 s2, v0, v1
	ds_load_2addr_b32 v[0:1], v17 offset0:36 offset1:92
	scratch_load_b32 v17, off, off offset:48 ; 4-byte Folded Reload
	s_waitcnt lgkmcnt(0)
	v_lshrrev_b32_e32 v3, 16, v0
	s_waitcnt vmcnt(1)
	v_mul_f16_e32 v8, v9, v0
	s_delay_alu instid0(VALU_DEP_2) | instskip(SKIP_1) | instid1(VALU_DEP_1)
	v_mul_f16_e32 v9, v9, v3
	s_waitcnt vmcnt(0)
	v_fmac_f16_e32 v9, v17, v0
	s_delay_alu instid0(VALU_DEP_3) | instskip(NEXT) | instid1(VALU_DEP_2)
	v_fma_f16 v3, v17, v3, -v8
	v_cvt_f32_f16_e32 v0, v9
	s_delay_alu instid0(VALU_DEP_1) | instskip(NEXT) | instid1(VALU_DEP_1)
	v_cvt_f64_f32_e32 v[8:9], v0
	v_mul_f64 v[8:9], v[8:9], s[10:11]
	s_delay_alu instid0(VALU_DEP_1) | instskip(SKIP_3) | instid1(VALU_DEP_4)
	v_and_or_b32 v0, 0x1ff, v9, v8
	v_lshrrev_b32_e32 v8, 8, v9
	v_bfe_u32 v30, v9, 20, 11
	v_lshrrev_b32_e32 v9, 16, v9
	v_cmp_ne_u32_e64 s4, 0, v0
	s_delay_alu instid0(VALU_DEP_1) | instskip(NEXT) | instid1(VALU_DEP_1)
	v_cndmask_b32_e64 v0, 0, 1, s4
	v_and_or_b32 v0, 0xffe, v8, v0
	v_sub_nc_u32_e32 v8, 0x3f1, v30
	s_delay_alu instid0(VALU_DEP_2) | instskip(NEXT) | instid1(VALU_DEP_2)
	v_or_b32_e32 v17, 0x1000, v0
	v_med3_i32 v8, v8, 0, 13
	s_delay_alu instid0(VALU_DEP_1) | instskip(NEXT) | instid1(VALU_DEP_1)
	v_lshrrev_b32_e32 v31, v8, v17
	v_lshlrev_b32_e32 v8, v8, v31
	s_delay_alu instid0(VALU_DEP_1) | instskip(SKIP_4) | instid1(VALU_DEP_2)
	v_cmp_ne_u32_e64 s4, v8, v17
	scratch_load_b32 v8, off, off offset:40 ; 4-byte Folded Reload
	s_waitcnt vmcnt(0)
	v_mul_f16_e32 v33, v8, v32
	v_mul_f16_e32 v34, v8, v2
	v_fmac_f16_e32 v33, v36, v2
	v_cvt_f32_f16_e32 v2, v3
	s_delay_alu instid0(VALU_DEP_1) | instskip(NEXT) | instid1(VALU_DEP_1)
	v_cvt_f64_f32_e32 v[2:3], v2
	v_mul_f64 v[17:18], v[2:3], s[10:11]
	s_delay_alu instid0(VALU_DEP_1) | instskip(SKIP_1) | instid1(VALU_DEP_2)
	v_and_or_b32 v2, 0x1ff, v18, v17
	v_lshrrev_b32_e32 v3, 8, v18
	v_cmp_ne_u32_e64 s5, 0, v2
	s_delay_alu instid0(VALU_DEP_1) | instskip(NEXT) | instid1(VALU_DEP_1)
	v_cndmask_b32_e64 v2, 0, 1, s5
	v_and_or_b32 v17, 0xffe, v3, v2
	ds_load_2addr_b32 v[2:3], v16 offset0:14 offset1:70
	s_waitcnt lgkmcnt(0)
	v_lshrrev_b32_e32 v8, 16, v2
	v_mul_f16_e32 v16, v35, v2
	s_delay_alu instid0(VALU_DEP_2) | instskip(NEXT) | instid1(VALU_DEP_2)
	v_mul_f16_e32 v35, v35, v8
	v_fma_f16 v8, v37, v8, -v16
	s_delay_alu instid0(VALU_DEP_2) | instskip(SKIP_1) | instid1(VALU_DEP_3)
	v_fmac_f16_e32 v35, v37, v2
	v_cndmask_b32_e64 v2, 0, 1, s3
	v_cvt_f32_f16_e32 v8, v8
	s_delay_alu instid0(VALU_DEP_2) | instskip(SKIP_1) | instid1(VALU_DEP_1)
	v_or_b32_e32 v2, v27, v2
	v_add_nc_u32_e32 v27, 0xfffffc10, v15
	v_lshl_or_b32 v15, v27, 12, v11
	v_cmp_gt_i32_e64 s3, 1, v27
	s_delay_alu instid0(VALU_DEP_1) | instskip(SKIP_1) | instid1(VALU_DEP_1)
	v_cndmask_b32_e64 v2, v15, v2, s3
	v_cvt_f32_f16_e32 v15, v35
	v_cvt_f64_f32_e32 v[15:16], v15
	s_delay_alu instid0(VALU_DEP_1) | instskip(NEXT) | instid1(VALU_DEP_1)
	v_mul_f64 v[15:16], v[15:16], s[10:11]
	v_and_or_b32 v15, 0x1ff, v16, v15
	v_lshrrev_b32_e32 v35, 8, v16
	s_delay_alu instid0(VALU_DEP_2) | instskip(NEXT) | instid1(VALU_DEP_1)
	v_cmp_ne_u32_e64 s3, 0, v15
	v_cndmask_b32_e64 v15, 0, 1, s3
	s_delay_alu instid0(VALU_DEP_1) | instskip(SKIP_2) | instid1(VALU_DEP_2)
	v_and_or_b32 v15, 0xffe, v35, v15
	v_and_b32_e32 v35, 7, v2
	v_lshrrev_b32_e32 v2, 2, v2
	v_cmp_lt_i32_e64 s3, 5, v35
	v_cmp_eq_u32_e64 s5, 3, v35
	v_cndmask_b32_e64 v35, 0, 1, s0
	v_cmp_ne_u32_e64 s0, 0, v11
	v_add_nc_u32_e32 v11, 0xfffffc10, v23
	s_delay_alu instid0(VALU_DEP_4) | instskip(NEXT) | instid1(VALU_DEP_3)
	s_or_b32 s3, s5, s3
	v_or_b32_e32 v25, v25, v35
	v_add_co_ci_u32_e64 v2, s3, 0, v2, s3
	s_delay_alu instid0(VALU_DEP_3) | instskip(SKIP_3) | instid1(VALU_DEP_3)
	v_lshl_or_b32 v23, v11, 12, v24
	v_cmp_gt_i32_e64 s6, 1, v11
	v_cmp_gt_i32_e64 s3, 31, v27
	v_cmp_ne_u32_e64 s5, 0, v24
	v_cndmask_b32_e64 v23, v23, v25, s6
	v_cndmask_b32_e64 v25, 0, 1, s0
	s_delay_alu instid0(VALU_DEP_4) | instskip(SKIP_1) | instid1(VALU_DEP_3)
	v_cndmask_b32_e64 v2, 0x7c00, v2, s3
	v_cmp_eq_u32_e64 s0, 0x40f, v27
	v_lshl_or_b32 v25, v25, 9, 0x7c00
	s_delay_alu instid0(VALU_DEP_1) | instskip(SKIP_1) | instid1(VALU_DEP_2)
	v_cndmask_b32_e64 v2, v2, v25, s0
	v_and_b32_e32 v25, 7, v23
	v_and_or_b32 v2, 0x8000, v7, v2
	s_delay_alu instid0(VALU_DEP_2)
	v_cmp_lt_i32_e64 s0, 5, v25
	v_cmp_eq_u32_e64 s3, 3, v25
	v_lshrrev_b32_e32 v7, 2, v23
	v_cndmask_b32_e64 v23, 0, 1, s5
	v_and_b32_e32 v2, 0xffff, v2
	v_add_nc_u32_e32 v25, 0xfffffc10, v30
	s_or_b32 s0, s3, s0
	scratch_load_b32 v30, off, off offset:20 ; 4-byte Folded Reload
	v_add_co_ci_u32_e64 v7, s0, 0, v7, s0
	v_cmp_gt_i32_e64 s0, 31, v11
	v_lshl_or_b32 v23, v23, 9, 0x7c00
	s_delay_alu instid0(VALU_DEP_2) | instskip(SKIP_4) | instid1(VALU_DEP_4)
	v_cndmask_b32_e64 v7, 0x7c00, v7, s0
	v_cmp_eq_u32_e64 s0, 0x40f, v11
	v_lshrrev_b32_e32 v11, 16, v26
	v_bfe_u32 v26, v16, 20, 11
	v_lshrrev_b32_e32 v16, 16, v16
	v_cndmask_b32_e64 v7, v7, v23, s0
	v_cndmask_b32_e64 v23, 0, 1, s1
	s_delay_alu instid0(VALU_DEP_2) | instskip(SKIP_1) | instid1(VALU_DEP_3)
	v_and_or_b32 v7, 0x8000, v11, v7
	v_add_nc_u32_e32 v11, 0xfffffc10, v12
	v_or_b32_e32 v20, v20, v23
	s_delay_alu instid0(VALU_DEP_3) | instskip(NEXT) | instid1(VALU_DEP_3)
	v_lshl_or_b32 v2, v7, 16, v2
	v_lshl_or_b32 v12, v11, 12, v28
	v_cmp_gt_i32_e64 s0, 1, v11
	v_cndmask_b32_e64 v7, 0, 1, s2
	global_store_b32 v[5:6], v2, off
	v_or_b32_e32 v2, 0x1000, v15
	v_cndmask_b32_e64 v12, v12, v20, s0
	v_add_nc_u32_e32 v20, 0xfffffc10, v21
	v_or_b32_e32 v7, v29, v7
	scratch_load_b32 v29, off, off offset:12 ; 4-byte Folded Reload
	v_lshl_or_b32 v21, v20, 12, v22
	v_cmp_gt_i32_e64 s0, 1, v20
	s_delay_alu instid0(VALU_DEP_1) | instskip(SKIP_1) | instid1(VALU_DEP_1)
	v_cndmask_b32_e64 v21, v21, v7, s0
	v_and_b32_e32 v7, 7, v12
	v_cmp_lt_i32_e64 s0, 5, v7
	v_cmp_eq_u32_e64 s1, 3, v7
	s_delay_alu instid0(VALU_DEP_4) | instskip(SKIP_1) | instid1(VALU_DEP_3)
	v_and_b32_e32 v7, 7, v21
	v_lshrrev_b32_e32 v21, 2, v21
	s_or_b32 s0, s1, s0
	s_delay_alu instid0(VALU_DEP_2) | instskip(SKIP_2) | instid1(VALU_DEP_1)
	v_cmp_lt_i32_e64 s2, 5, v7
	v_cmp_eq_u32_e64 s3, 3, v7
	v_lshrrev_b32_e32 v7, 2, v12
	v_add_co_ci_u32_e64 v7, s0, 0, v7, s0
	v_cmp_ne_u32_e64 s0, 0, v28
	s_delay_alu instid0(VALU_DEP_1) | instskip(SKIP_1) | instid1(VALU_DEP_2)
	v_cndmask_b32_e64 v12, 0, 1, s0
	v_cmp_gt_i32_e64 s0, 31, v11
	v_lshl_or_b32 v12, v12, 9, 0x7c00
	s_delay_alu instid0(VALU_DEP_2) | instskip(SKIP_2) | instid1(VALU_DEP_2)
	v_cndmask_b32_e64 v23, 0x7c00, v7, s0
	v_cmp_eq_u32_e64 s0, 0x40f, v11
	v_cvt_f64_f32_e32 v[7:8], v8
	v_cndmask_b32_e64 v11, v23, v12, s0
	s_or_b32 s0, s3, s2
	v_bfe_u32 v12, v18, 20, 11
	v_add_co_ci_u32_e64 v21, s0, 0, v21, s0
	v_cmp_ne_u32_e64 s0, 0, v22
	v_cndmask_b32_e64 v23, 0, 1, s4
	s_delay_alu instid0(VALU_DEP_4)
	v_sub_nc_u32_e32 v24, 0x3f1, v12
	v_and_or_b32 v27, 0x8000, v10, v11
	v_sub_nc_u32_e32 v10, 0x3f1, v26
	v_cndmask_b32_e64 v22, 0, 1, s0
	v_cmp_gt_i32_e64 s0, 31, v20
	v_or_b32_e32 v23, v31, v23
	v_med3_i32 v24, v24, 0, 13
	v_add_nc_u32_e32 v12, 0xfffffc10, v12
	v_lshl_or_b32 v22, v22, 9, 0x7c00
	v_cndmask_b32_e64 v21, 0x7c00, v21, s0
	v_cmp_eq_u32_e64 s0, 0x40f, v20
	s_delay_alu instid0(VALU_DEP_4) | instskip(NEXT) | instid1(VALU_DEP_2)
	v_cmp_gt_i32_e64 s2, 1, v12
	v_cndmask_b32_e64 v20, v21, v22, s0
	v_lshl_or_b32 v21, v25, 12, v0
	v_or_b32_e32 v22, 0x1000, v17
	v_cmp_gt_i32_e64 s0, 1, v25
	s_delay_alu instid0(VALU_DEP_4) | instskip(NEXT) | instid1(VALU_DEP_2)
	v_and_or_b32 v28, 0x8000, v19, v20
	v_cndmask_b32_e64 v21, v21, v23, s0
	s_delay_alu instid0(VALU_DEP_4) | instskip(SKIP_1) | instid1(VALU_DEP_2)
	v_lshrrev_b32_e32 v23, v24, v22
	v_mul_f64 v[7:8], v[7:8], s[10:11]
	v_lshlrev_b32_e32 v11, v24, v23
	v_med3_i32 v24, v10, 0, 13
	s_delay_alu instid0(VALU_DEP_2) | instskip(SKIP_2) | instid1(VALU_DEP_3)
	v_cmp_ne_u32_e64 s0, v11, v22
	v_and_b32_e32 v11, 7, v21
	v_lshl_or_b32 v22, v12, 12, v17
	v_cndmask_b32_e64 v10, 0, 1, s0
	s_delay_alu instid0(VALU_DEP_3) | instskip(SKIP_2) | instid1(VALU_DEP_4)
	v_cmp_lt_i32_e64 s0, 5, v11
	v_cmp_eq_u32_e64 s1, 3, v11
	v_lshrrev_b32_e32 v11, 2, v21
	v_or_b32_e32 v10, v23, v10
	v_lshrrev_b32_e32 v23, v24, v2
	s_delay_alu instid0(VALU_DEP_4) | instskip(NEXT) | instid1(VALU_DEP_2)
	s_or_b32 s0, s1, s0
	v_cndmask_b32_e64 v19, v22, v10, s2
	v_add_co_ci_u32_e64 v10, s0, 0, v11, s0
	v_cmp_ne_u32_e64 s0, 0, v0
	v_cvt_f32_f16_e32 v11, v33
	s_delay_alu instid0(VALU_DEP_4)
	v_and_b32_e32 v20, 7, v19
	v_lshrrev_b32_e32 v19, 2, v19
	v_cmp_eq_u32_e64 s2, 0x40f, v25
	v_cndmask_b32_e64 v0, 0, 1, s0
	v_cmp_gt_i32_e64 s0, 31, v25
	v_cmp_eq_u32_e64 s1, 3, v20
	v_lshlrev_b32_e32 v22, v24, v23
	v_and_b32_e32 v25, 0xffff, v27
	v_lshl_or_b32 v0, v0, 9, 0x7c00
	v_cndmask_b32_e64 v21, 0x7c00, v10, s0
	v_cmp_lt_i32_e64 s0, 5, v20
	v_cvt_f64_f32_e32 v[10:11], v11
	v_fma_f16 v20, v36, v32, -v34
	v_and_or_b32 v7, 0x1ff, v8, v7
	v_cndmask_b32_e64 v0, v21, v0, s2
	s_or_b32 s0, s1, s0
	v_bfe_u32 v24, v8, 20, 11
	v_add_co_ci_u32_e64 v19, s0, 0, v19, s0
	v_cmp_ne_u32_e64 s0, 0, v17
	v_and_or_b32 v0, 0x8000, v9, v0
	v_cvt_f32_f16_e32 v9, v20
	scratch_load_b32 v27, off, off offset:28 ; 4-byte Folded Reload
	v_cndmask_b32_e64 v17, 0, 1, s0
	v_cmp_gt_i32_e64 s0, 31, v12
	v_and_b32_e32 v0, 0xffff, v0
	s_delay_alu instid0(VALU_DEP_3) | instskip(NEXT) | instid1(VALU_DEP_3)
	v_lshl_or_b32 v17, v17, 9, 0x7c00
	v_cndmask_b32_e64 v21, 0x7c00, v19, s0
	v_cmp_ne_u32_e64 s0, 0, v7
	v_cvt_f64_f32_e32 v[19:20], v9
	v_lshrrev_b32_e32 v9, 8, v8
	s_delay_alu instid0(VALU_DEP_3) | instskip(SKIP_2) | instid1(VALU_DEP_3)
	v_cndmask_b32_e64 v7, 0, 1, s0
	v_cmp_ne_u32_e64 s0, v22, v2
	v_add_nc_u32_e32 v22, 0xfffffc10, v26
	v_and_or_b32 v7, 0xffe, v9, v7
	s_delay_alu instid0(VALU_DEP_3) | instskip(SKIP_3) | instid1(VALU_DEP_4)
	v_cndmask_b32_e64 v2, 0, 1, s0
	v_sub_nc_u32_e32 v9, 0x3f1, v24
	v_cmp_eq_u32_e64 s0, 0x40f, v12
	v_add_nc_u32_e32 v24, 0xfffffc10, v24
	v_or_b32_e32 v2, v23, v2
	v_lshl_or_b32 v23, v22, 12, v15
	s_delay_alu instid0(VALU_DEP_4)
	v_cndmask_b32_e64 v12, v21, v17, s0
	v_or_b32_e32 v17, 0x1000, v7
	v_med3_i32 v21, v9, 0, 13
	v_mul_f64 v[9:10], v[10:11], s[10:11]
	v_lshrrev_b32_e32 v11, 16, v18
	v_cmp_gt_i32_e64 s0, 1, v22
	s_delay_alu instid0(VALU_DEP_4) | instskip(NEXT) | instid1(VALU_DEP_2)
	v_lshrrev_b32_e32 v26, v21, v17
	v_cndmask_b32_e64 v2, v23, v2, s0
	v_add_co_u32 v5, s0, v5, s12
	s_delay_alu instid0(VALU_DEP_3) | instskip(SKIP_1) | instid1(VALU_DEP_4)
	v_lshlrev_b32_e32 v18, v21, v26
	v_and_or_b32 v21, 0x8000, v11, v12
	v_and_b32_e32 v11, 7, v2
	v_lshl_or_b32 v23, v28, 16, v25
	v_lshrrev_b32_e32 v25, 16, v4
	v_cmp_ne_u32_e64 s2, v18, v17
	v_add_co_ci_u32_e64 v6, s0, s13, v6, s0
	v_cmp_lt_i32_e64 s0, 5, v11
	v_cmp_eq_u32_e64 s1, 3, v11
	s_delay_alu instid0(VALU_DEP_4)
	v_cndmask_b32_e64 v17, 0, 1, s2
	v_lshrrev_b32_e32 v2, 2, v2
	v_mul_f64 v[11:12], v[19:20], s[10:11]
	v_lshl_or_b32 v19, v24, 12, v7
	s_or_b32 s0, s1, s0
	v_or_b32_e32 v17, v26, v17
	scratch_load_b32 v26, off, off offset:24 ; 4-byte Folded Reload
	v_add_co_ci_u32_e64 v2, s0, 0, v2, s0
	v_cmp_ne_u32_e64 s0, 0, v15
	v_lshl_or_b32 v0, v21, 16, v0
	v_lshrrev_b32_e32 v28, 16, v1
	s_delay_alu instid0(VALU_DEP_3) | instskip(SKIP_2) | instid1(VALU_DEP_3)
	v_cndmask_b32_e64 v15, 0, 1, s0
	v_cmp_gt_i32_e64 s0, 1, v24
	v_and_or_b32 v9, 0x1ff, v10, v9
	v_lshl_or_b32 v15, v15, 9, 0x7c00
	s_delay_alu instid0(VALU_DEP_3) | instskip(SKIP_3) | instid1(VALU_DEP_4)
	v_cndmask_b32_e64 v19, v19, v17, s0
	v_cmp_gt_i32_e64 s0, 31, v22
	v_bfe_u32 v21, v10, 20, 11
	v_cmp_ne_u32_e64 s1, 0, v9
	v_and_b32_e32 v20, 7, v19
	s_delay_alu instid0(VALU_DEP_4) | instskip(SKIP_1) | instid1(VALU_DEP_4)
	v_cndmask_b32_e64 v2, 0x7c00, v2, s0
	v_cmp_eq_u32_e64 s0, 0x40f, v22
	v_cndmask_b32_e64 v9, 0, 1, s1
	v_lshrrev_b32_e32 v19, 2, v19
	v_cmp_eq_u32_e64 s1, 3, v20
	s_delay_alu instid0(VALU_DEP_4) | instskip(SKIP_3) | instid1(VALU_DEP_4)
	v_cndmask_b32_e64 v2, v2, v15, s0
	v_lshrrev_b32_e32 v15, 8, v10
	v_cmp_lt_i32_e64 s0, 5, v20
	v_lshrrev_b32_e32 v10, 16, v10
	v_and_or_b32 v2, 0x8000, v16, v2
	s_delay_alu instid0(VALU_DEP_4)
	v_and_or_b32 v9, 0xffe, v15, v9
	v_sub_nc_u32_e32 v15, 0x3f1, v21
	s_or_b32 s0, s1, s0
	v_and_or_b32 v11, 0x1ff, v12, v11
	v_add_co_ci_u32_e64 v19, s0, 0, v19, s0
	v_or_b32_e32 v20, 0x1000, v9
	v_med3_i32 v15, v15, 0, 13
	v_cmp_ne_u32_e64 s0, 0, v7
	v_and_b32_e32 v2, 0xffff, v2
	s_delay_alu instid0(VALU_DEP_3) | instskip(NEXT) | instid1(VALU_DEP_3)
	v_lshrrev_b32_e32 v22, v15, v20
	v_cndmask_b32_e64 v7, 0, 1, s0
	v_cmp_gt_i32_e64 s0, 31, v24
	s_delay_alu instid0(VALU_DEP_2) | instskip(NEXT) | instid1(VALU_DEP_2)
	v_lshl_or_b32 v7, v7, 9, 0x7c00
	v_cndmask_b32_e64 v19, 0x7c00, v19, s0
	v_cmp_ne_u32_e64 s0, 0, v11
	s_delay_alu instid0(VALU_DEP_1) | instskip(SKIP_3) | instid1(VALU_DEP_1)
	v_cndmask_b32_e64 v11, 0, 1, s0
	s_waitcnt vmcnt(1)
	v_mul_f16_e32 v18, v27, v25
	s_waitcnt vmcnt(0)
	v_fmac_f16_e32 v18, v26, v4
	v_mul_f16_e32 v4, v27, v4
	v_lshlrev_b32_e32 v27, v15, v22
	s_delay_alu instid0(VALU_DEP_3) | instskip(NEXT) | instid1(VALU_DEP_3)
	v_cvt_f32_f16_e32 v18, v18
	v_fma_f16 v4, v26, v25, -v4
	s_delay_alu instid0(VALU_DEP_3)
	v_cmp_ne_u32_e64 s0, v27, v20
	v_lshrrev_b32_e32 v25, 8, v12
	v_bfe_u32 v26, v12, 20, 11
	v_cvt_f64_f32_e32 v[17:18], v18
	v_cvt_f32_f16_e32 v4, v4
	v_add_nc_u32_e32 v20, 0xfffffc10, v21
	v_and_or_b32 v11, 0xffe, v25, v11
	v_sub_nc_u32_e32 v25, 0x3f1, v26
	v_lshrrev_b32_e32 v12, 16, v12
	s_delay_alu instid0(VALU_DEP_3) | instskip(NEXT) | instid1(VALU_DEP_3)
	v_or_b32_e32 v21, 0x1000, v11
	v_med3_i32 v25, v25, 0, 13
	s_delay_alu instid0(VALU_DEP_1)
	v_lshrrev_b32_e32 v27, v25, v21
	v_mul_f64 v[15:16], v[17:18], s[10:11]
	v_cvt_f64_f32_e32 v[17:18], v4
	v_cndmask_b32_e64 v4, 0, 1, s0
	v_cmp_eq_u32_e64 s0, 0x40f, v24
	v_lshrrev_b32_e32 v24, 16, v8
	s_delay_alu instid0(VALU_DEP_3) | instskip(NEXT) | instid1(VALU_DEP_3)
	v_or_b32_e32 v4, v22, v4
	v_cndmask_b32_e64 v19, v19, v7, s0
	v_add_co_u32 v7, s0, v5, s12
	s_delay_alu instid0(VALU_DEP_1)
	v_add_co_ci_u32_e64 v8, s0, s13, v6, s0
	v_lshl_or_b32 v22, v20, 12, v9
	v_cmp_gt_i32_e64 s0, 1, v20
	v_and_or_b32 v19, 0x8000, v24, v19
	v_lshlrev_b32_e32 v24, v25, v27
	global_store_b32 v[5:6], v23, off
	global_store_b32 v[7:8], v0, off
	v_cndmask_b32_e64 v22, v22, v4, s0
	v_mul_f16_e32 v4, v30, v28
	v_cmp_ne_u32_e64 s1, v24, v21
	v_lshl_or_b32 v2, v19, 16, v2
	v_add_nc_u32_e32 v19, 0xfffffc10, v26
	v_and_b32_e32 v25, 7, v22
	v_fmac_f16_e32 v4, v29, v1
	v_cndmask_b32_e64 v6, 0, 1, s1
	scratch_load_b32 v26, off, off offset:8 ; 4-byte Folded Reload
	v_lshl_or_b32 v21, v19, 12, v11
	v_cmp_lt_i32_e64 s0, 5, v25
	v_cvt_f32_f16_e32 v0, v4
	v_cmp_eq_u32_e64 s1, 3, v25
	v_or_b32_e32 v6, v27, v6
	v_mul_f16_e32 v1, v30, v1
	s_delay_alu instid0(VALU_DEP_4) | instskip(NEXT) | instid1(VALU_DEP_4)
	v_cvt_f64_f32_e32 v[4:5], v0
	s_or_b32 s0, s1, s0
	v_and_or_b32 v0, 0x1ff, v16, v15
	v_lshrrev_b32_e32 v15, 2, v22
	v_lshrrev_b32_e32 v22, 8, v16
	v_bfe_u32 v23, v16, 20, 11
	v_mul_f64 v[17:18], v[17:18], s[10:11]
	v_cmp_ne_u32_e64 s2, 0, v0
	v_add_co_ci_u32_e64 v15, s0, 0, v15, s0
	v_cmp_gt_i32_e64 s0, 1, v19
	v_fma_f16 v1, v29, v28, -v1
	s_delay_alu instid0(VALU_DEP_4)
	v_cndmask_b32_e64 v0, 0, 1, s2
	v_cmp_eq_u32_e64 s2, 0x40f, v20
	v_lshrrev_b32_e32 v16, 16, v16
	v_cndmask_b32_e64 v6, v21, v6, s0
	v_cmp_ne_u32_e64 s0, 0, v9
	v_and_or_b32 v21, 0xffe, v22, v0
	v_sub_nc_u32_e32 v0, 0x3f1, v23
	v_cvt_f32_f16_e32 v1, v1
	v_and_b32_e32 v22, 7, v6
	v_cndmask_b32_e64 v9, 0, 1, s0
	v_cmp_gt_i32_e64 s0, 31, v20
	v_or_b32_e32 v24, 0x1000, v21
	v_med3_i32 v0, v0, 0, 13
	v_cmp_eq_u32_e64 s1, 3, v22
	v_lshrrev_b32_e32 v6, 2, v6
	v_cndmask_b32_e64 v15, 0x7c00, v15, s0
	v_cmp_lt_i32_e64 s0, 5, v22
	v_lshrrev_b32_e32 v25, v0, v24
	v_lshl_or_b32 v9, v9, 9, 0x7c00
	s_delay_alu instid0(VALU_DEP_3) | instskip(NEXT) | instid1(VALU_DEP_2)
	s_or_b32 s0, s1, s0
	v_lshlrev_b32_e32 v0, v0, v25
	v_add_co_ci_u32_e64 v6, s0, 0, v6, s0
	v_cmp_ne_u32_e64 s0, 0, v11
	v_mul_f64 v[4:5], v[4:5], s[10:11]
	v_cndmask_b32_e64 v9, v15, v9, s2
	v_add_nc_u32_e32 v15, 0xfffffc10, v23
	v_lshrrev_b32_e32 v23, 16, v3
	v_cndmask_b32_e64 v11, 0, 1, s0
	v_cmp_ne_u32_e64 s0, v0, v24
	v_and_or_b32 v17, 0x1ff, v18, v17
	v_lshl_or_b32 v20, v15, 12, v21
	v_and_or_b32 v22, 0x8000, v10, v9
	v_lshl_or_b32 v11, v11, 9, 0x7c00
	v_cndmask_b32_e64 v0, 0, 1, s0
	v_cmp_gt_i32_e64 s0, 31, v19
	s_delay_alu instid0(VALU_DEP_4) | instskip(NEXT) | instid1(VALU_DEP_3)
	v_and_b32_e32 v22, 0xffff, v22
	v_or_b32_e32 v0, v25, v0
	scratch_load_b32 v25, off, off offset:16 ; 4-byte Folded Reload
	v_cndmask_b32_e64 v6, 0x7c00, v6, s0
	v_cmp_gt_i32_e64 s0, 1, v15
	s_delay_alu instid0(VALU_DEP_1)
	v_cndmask_b32_e64 v9, v20, v0, s0
	v_cmp_ne_u32_e64 s0, 0, v17
	v_lshrrev_b32_e32 v17, 8, v18
	v_bfe_u32 v20, v18, 20, 11
	v_cvt_f64_f32_e32 v[0:1], v1
	v_lshrrev_b32_e32 v18, 16, v18
	v_cndmask_b32_e64 v10, 0, 1, s0
	v_cmp_eq_u32_e64 s0, 0x40f, v19
	s_delay_alu instid0(VALU_DEP_2) | instskip(SKIP_1) | instid1(VALU_DEP_3)
	v_and_or_b32 v17, 0xffe, v17, v10
	v_sub_nc_u32_e32 v10, 0x3f1, v20
	v_cndmask_b32_e64 v6, v6, v11, s0
	v_and_b32_e32 v11, 7, v9
	v_and_or_b32 v4, 0x1ff, v5, v4
	v_or_b32_e32 v24, 0x1000, v17
	v_med3_i32 v10, v10, 0, 13
	v_add_nc_u32_e32 v20, 0xfffffc10, v20
	v_cmp_lt_i32_e64 s0, 5, v11
	v_cmp_eq_u32_e64 s1, 3, v11
	v_and_or_b32 v11, 0x8000, v12, v6
	v_lshrrev_b32_e32 v6, 2, v9
	v_lshrrev_b32_e32 v12, v10, v24
	s_delay_alu instid0(VALU_DEP_4) | instskip(NEXT) | instid1(VALU_DEP_3)
	s_or_b32 s0, s1, s0
	v_lshl_or_b32 v22, v11, 16, v22
	s_delay_alu instid0(VALU_DEP_3) | instskip(SKIP_1) | instid1(VALU_DEP_1)
	v_add_co_ci_u32_e64 v6, s0, 0, v6, s0
	v_cmp_ne_u32_e64 s0, 0, v21
	v_cndmask_b32_e64 v21, 0, 1, s0
	v_cmp_ne_u32_e64 s0, 0, v4
	s_delay_alu instid0(VALU_DEP_2) | instskip(NEXT) | instid1(VALU_DEP_2)
	v_lshl_or_b32 v21, v21, 9, 0x7c00
	v_cndmask_b32_e64 v4, 0, 1, s0
	v_mul_f64 v[0:1], v[0:1], s[10:11]
	s_delay_alu instid0(VALU_DEP_1) | instskip(SKIP_2) | instid1(VALU_DEP_1)
	v_and_or_b32 v0, 0x1ff, v1, v0
	s_waitcnt vmcnt(0)
	v_mul_f16_e32 v19, v25, v23
	v_fmac_f16_e32 v19, v26, v3
	v_mul_f16_e32 v3, v25, v3
	v_lshrrev_b32_e32 v25, 8, v5
	s_delay_alu instid0(VALU_DEP_3) | instskip(SKIP_1) | instid1(VALU_DEP_4)
	v_cvt_f32_f16_e32 v9, v19
	v_lshlrev_b32_e32 v19, v10, v12
	v_fma_f16 v3, v26, v23, -v3
	v_bfe_u32 v23, v5, 20, 11
	v_lshrrev_b32_e32 v5, 16, v5
	v_cvt_f64_f32_e32 v[9:10], v9
	v_cmp_ne_u32_e64 s0, v19, v24
	v_cvt_f32_f16_e32 v3, v3
	v_and_or_b32 v24, 0xffe, v25, v4
	v_sub_nc_u32_e32 v25, 0x3f1, v23
	s_delay_alu instid0(VALU_DEP_4)
	v_cndmask_b32_e64 v19, 0, 1, s0
	v_cmp_gt_i32_e64 s0, 31, v15
	v_cvt_f64_f32_e32 v[3:4], v3
	v_or_b32_e32 v26, 0x1000, v24
	v_med3_i32 v25, v25, 0, 13
	v_or_b32_e32 v12, v12, v19
	v_lshl_or_b32 v19, v20, 12, v17
	v_cndmask_b32_e64 v27, 0x7c00, v6, s0
	v_cmp_gt_i32_e64 s0, 1, v20
	v_lshrrev_b32_e32 v28, v25, v26
	s_delay_alu instid0(VALU_DEP_2) | instskip(SKIP_1) | instid1(VALU_DEP_1)
	v_cndmask_b32_e64 v12, v19, v12, s0
	v_add_co_u32 v6, s0, v7, s12
	v_add_co_ci_u32_e64 v7, s0, s13, v8, s0
	s_delay_alu instid0(VALU_DEP_3) | instskip(SKIP_3) | instid1(VALU_DEP_4)
	v_and_b32_e32 v8, 7, v12
	v_cmp_eq_u32_e64 s0, 0x40f, v15
	v_lshlrev_b32_e32 v19, v25, v28
	v_bfe_u32 v25, v1, 20, 11
	v_cmp_eq_u32_e64 s1, 3, v8
	s_delay_alu instid0(VALU_DEP_4) | instskip(SKIP_2) | instid1(VALU_DEP_3)
	v_cndmask_b32_e64 v15, v27, v21, s0
	v_cmp_lt_i32_e64 s0, 5, v8
	v_cmp_ne_u32_e64 s2, v19, v26
	v_and_or_b32 v15, 0x8000, v16, v15
	s_delay_alu instid0(VALU_DEP_3) | instskip(NEXT) | instid1(VALU_DEP_2)
	s_or_b32 s0, s1, s0
	v_cndmask_b32_e64 v11, 0, 1, s2
	v_mul_f64 v[8:9], v[9:10], s[10:11]
	v_lshrrev_b32_e32 v10, 2, v12
	v_add_nc_u32_e32 v12, 0xfffffc10, v23
	v_and_b32_e32 v15, 0xffff, v15
	v_or_b32_e32 v19, v28, v11
	s_delay_alu instid0(VALU_DEP_4) | instskip(SKIP_3) | instid1(VALU_DEP_3)
	v_add_co_ci_u32_e64 v10, s0, 0, v10, s0
	v_cmp_ne_u32_e64 s0, 0, v17
	v_lshl_or_b32 v21, v12, 12, v24
	v_mul_f64 v[3:4], v[3:4], s[10:11]
	v_cndmask_b32_e64 v17, 0, 1, s0
	v_cmp_gt_i32_e64 s0, 31, v20
	s_delay_alu instid0(VALU_DEP_2) | instskip(NEXT) | instid1(VALU_DEP_2)
	v_lshl_or_b32 v17, v17, 9, 0x7c00
	v_cndmask_b32_e64 v23, 0x7c00, v10, s0
	v_add_co_u32 v10, s0, v6, s15
	s_delay_alu instid0(VALU_DEP_1) | instskip(SKIP_1) | instid1(VALU_DEP_1)
	v_add_co_ci_u32_e64 v11, s0, s14, v7, s0
	v_cmp_gt_i32_e64 s0, 1, v12
	v_cndmask_b32_e64 v19, v21, v19, s0
	v_cmp_ne_u32_e64 s0, 0, v0
	v_lshrrev_b32_e32 v21, 8, v1
	v_lshrrev_b32_e32 v1, 16, v1
	s_delay_alu instid0(VALU_DEP_3)
	v_cndmask_b32_e64 v0, 0, 1, s0
	v_cmp_eq_u32_e64 s0, 0x40f, v20
	v_and_b32_e32 v20, 7, v19
	v_lshrrev_b32_e32 v19, 2, v19
	v_and_or_b32 v8, 0x1ff, v9, v8
	v_and_or_b32 v0, 0xffe, v21, v0
	v_cndmask_b32_e64 v17, v23, v17, s0
	v_sub_nc_u32_e32 v21, 0x3f1, v25
	v_cmp_lt_i32_e64 s0, 5, v20
	v_cmp_eq_u32_e64 s1, 3, v20
	v_bfe_u32 v23, v9, 20, 11
	v_and_or_b32 v16, 0x8000, v18, v17
	v_or_b32_e32 v17, 0x1000, v0
	v_med3_i32 v18, v21, 0, 13
	s_or_b32 s0, s1, s0
	v_lshrrev_b32_e32 v21, 8, v9
	v_add_co_ci_u32_e64 v19, s0, 0, v19, s0
	s_delay_alu instid0(VALU_DEP_3)
	v_lshrrev_b32_e32 v20, v18, v17
	v_cmp_ne_u32_e64 s0, 0, v8
	v_and_or_b32 v3, 0x1ff, v4, v3
	v_lshrrev_b32_e32 v26, 8, v4
	v_bfe_u32 v27, v4, 20, 11
	v_lshlrev_b32_e32 v18, v18, v20
	v_cndmask_b32_e64 v8, 0, 1, s0
	v_cmp_ne_u32_e64 s0, 0, v24
	v_lshrrev_b32_e32 v9, 16, v9
	v_lshl_or_b32 v15, v16, 16, v15
	s_delay_alu instid0(VALU_DEP_4) | instskip(NEXT) | instid1(VALU_DEP_4)
	v_and_or_b32 v8, 0xffe, v21, v8
	v_cndmask_b32_e64 v24, 0, 1, s0
	v_cmp_ne_u32_e64 s0, v18, v17
	v_sub_nc_u32_e32 v21, 0x3f1, v23
	v_add_nc_u32_e32 v18, 0xfffffc10, v25
	v_or_b32_e32 v25, 0x1000, v8
	s_delay_alu instid0(VALU_DEP_4) | instskip(SKIP_2) | instid1(VALU_DEP_3)
	v_cndmask_b32_e64 v17, 0, 1, s0
	v_cmp_gt_i32_e64 s0, 31, v12
	v_med3_i32 v21, v21, 0, 13
	v_or_b32_e32 v17, v20, v17
	s_delay_alu instid0(VALU_DEP_3) | instskip(SKIP_3) | instid1(VALU_DEP_3)
	v_cndmask_b32_e64 v19, 0x7c00, v19, s0
	v_cmp_ne_u32_e64 s0, 0, v3
	v_lshl_or_b32 v20, v18, 12, v0
	v_lshrrev_b32_e32 v28, v21, v25
	v_cndmask_b32_e64 v3, 0, 1, s0
	v_cmp_gt_i32_e64 s0, 1, v18
	s_delay_alu instid0(VALU_DEP_3) | instskip(NEXT) | instid1(VALU_DEP_3)
	v_lshlrev_b32_e32 v21, v21, v28
	v_and_or_b32 v3, 0xffe, v26, v3
	v_sub_nc_u32_e32 v26, 0x3f1, v27
	s_delay_alu instid0(VALU_DEP_4)
	v_cndmask_b32_e64 v17, v20, v17, s0
	v_lshl_or_b32 v20, v24, 9, 0x7c00
	v_cmp_eq_u32_e64 s0, 0x40f, v12
	v_or_b32_e32 v24, 0x1000, v3
	v_med3_i32 v26, v26, 0, 13
	v_and_b32_e32 v29, 7, v17
	v_lshrrev_b32_e32 v17, 2, v17
	v_cndmask_b32_e64 v12, v19, v20, s0
	v_cmp_ne_u32_e64 s0, v21, v25
	v_add_nc_u32_e32 v20, 0xfffffc10, v23
	v_lshrrev_b32_e32 v21, v26, v24
	v_cmp_eq_u32_e64 s1, 3, v29
	v_and_or_b32 v5, 0x8000, v5, v12
	v_cndmask_b32_e64 v19, 0, 1, s0
	v_lshl_or_b32 v23, v20, 12, v8
	v_lshlrev_b32_e32 v25, v26, v21
	v_cmp_gt_i32_e64 s2, 1, v20
	v_cmp_lt_i32_e64 s0, 5, v29
	v_or_b32_e32 v19, v28, v19
	s_delay_alu instid0(VALU_DEP_2) | instskip(NEXT) | instid1(VALU_DEP_1)
	s_or_b32 s0, s1, s0
	v_cndmask_b32_e64 v19, v23, v19, s2
	v_cmp_ne_u32_e64 s2, v25, v24
	v_add_nc_u32_e32 v24, 0xfffffc10, v27
	v_add_co_ci_u32_e64 v17, s0, 0, v17, s0
	s_delay_alu instid0(VALU_DEP_4) | instskip(NEXT) | instid1(VALU_DEP_4)
	v_and_b32_e32 v25, 7, v19
	v_cndmask_b32_e64 v23, 0, 1, s2
	v_cmp_ne_u32_e64 s0, 0, v0
	v_cmp_gt_i32_e64 s1, 1, v24
	v_lshrrev_b32_e32 v19, 2, v19
	v_cmp_gt_i32_e64 s2, 31, v18
	v_or_b32_e32 v21, v21, v23
	v_lshl_or_b32 v23, v24, 12, v3
	v_cndmask_b32_e64 v0, 0, 1, s0
	v_cmp_lt_i32_e64 s0, 5, v25
	v_cndmask_b32_e64 v17, 0x7c00, v17, s2
	v_cmp_eq_u32_e64 s2, 0x40f, v18
	v_cndmask_b32_e64 v12, v23, v21, s1
	v_cmp_eq_u32_e64 s1, 3, v25
	v_lshl_or_b32 v0, v0, 9, 0x7c00
	s_delay_alu instid0(VALU_DEP_3) | instskip(NEXT) | instid1(VALU_DEP_3)
	v_and_b32_e32 v21, 7, v12
	s_or_b32 s0, s1, s0
	v_lshrrev_b32_e32 v12, 2, v12
	v_add_co_ci_u32_e64 v19, s0, 0, v19, s0
	v_cmp_ne_u32_e64 s0, 0, v8
	v_cmp_eq_u32_e64 s1, 3, v21
	v_cndmask_b32_e64 v0, v17, v0, s2
	v_cmp_gt_i32_e64 s2, 31, v20
	s_delay_alu instid0(VALU_DEP_4) | instskip(SKIP_1) | instid1(VALU_DEP_4)
	v_cndmask_b32_e64 v8, 0, 1, s0
	v_cmp_lt_i32_e64 s0, 5, v21
	v_and_or_b32 v0, 0x8000, v1, v0
	s_delay_alu instid0(VALU_DEP_4) | instskip(SKIP_3) | instid1(SALU_CYCLE_1)
	v_cndmask_b32_e64 v17, 0x7c00, v19, s2
	v_and_b32_e32 v1, 0xffff, v5
	v_lshl_or_b32 v8, v8, 9, 0x7c00
	s_or_b32 s0, s1, s0
	v_add_co_ci_u32_e64 v12, s0, 0, v12, s0
	v_cmp_ne_u32_e64 s0, 0, v3
	s_delay_alu instid0(VALU_DEP_1) | instskip(SKIP_1) | instid1(VALU_DEP_2)
	v_cndmask_b32_e64 v3, 0, 1, s0
	v_cmp_eq_u32_e64 s0, 0x40f, v20
	v_lshl_or_b32 v3, v3, 9, 0x7c00
	s_delay_alu instid0(VALU_DEP_2) | instskip(SKIP_1) | instid1(VALU_DEP_2)
	v_cndmask_b32_e64 v8, v17, v8, s0
	v_cmp_gt_i32_e64 s0, 31, v24
	v_and_or_b32 v5, 0x8000, v9, v8
	s_delay_alu instid0(VALU_DEP_2) | instskip(SKIP_2) | instid1(VALU_DEP_2)
	v_cndmask_b32_e64 v12, 0x7c00, v12, s0
	v_cmp_eq_u32_e64 s0, 0x40f, v24
	v_lshrrev_b32_e32 v9, 16, v4
	v_cndmask_b32_e64 v8, v12, v3, s0
	v_add_co_u32 v3, s0, v10, s12
	s_delay_alu instid0(VALU_DEP_1) | instskip(SKIP_1) | instid1(VALU_DEP_4)
	v_add_co_ci_u32_e64 v4, s0, s13, v11, s0
	v_lshl_or_b32 v12, v0, 16, v1
	v_and_or_b32 v0, 0x8000, v9, v8
	v_and_b32_e32 v1, 0xffff, v5
	v_add_co_u32 v8, s0, v3, s12
	s_delay_alu instid0(VALU_DEP_1) | instskip(NEXT) | instid1(VALU_DEP_3)
	v_add_co_ci_u32_e64 v9, s0, s13, v4, s0
	v_lshl_or_b32 v5, v0, 16, v1
	s_delay_alu instid0(VALU_DEP_3) | instskip(NEXT) | instid1(VALU_DEP_1)
	v_add_co_u32 v0, s0, v8, s12
	v_add_co_ci_u32_e64 v1, s0, s13, v9, s0
	global_store_b32 v[6:7], v2, off
	global_store_b32 v[10:11], v22, off
	;; [unrolled: 1-line block ×5, first 2 shown]
	s_and_b32 exec_lo, exec_lo, vcc_lo
	s_cbranch_execz .LBB0_25
; %bb.24:
	scratch_load_b64 v[22:23], off, off     ; 8-byte Folded Reload
	s_waitcnt vmcnt(0)
	global_load_b32 v2, v[22:23], off offset:1792
	ds_load_b32 v3, v98 offset:1792
	ds_load_b32 v9, v98 offset:3752
	;; [unrolled: 1-line block ×4, first 2 shown]
	s_waitcnt lgkmcnt(3)
	v_lshrrev_b32_e32 v4, 16, v3
	s_waitcnt vmcnt(0)
	v_lshrrev_b32_e32 v5, 16, v2
	s_delay_alu instid0(VALU_DEP_1) | instskip(SKIP_1) | instid1(VALU_DEP_2)
	v_mul_f16_e32 v6, v4, v5
	v_mul_f16_e32 v5, v3, v5
	v_fmac_f16_e32 v6, v3, v2
	s_delay_alu instid0(VALU_DEP_2) | instskip(NEXT) | instid1(VALU_DEP_2)
	v_fma_f16 v2, v2, v4, -v5
	v_cvt_f32_f16_e32 v3, v6
	s_delay_alu instid0(VALU_DEP_2) | instskip(NEXT) | instid1(VALU_DEP_2)
	v_cvt_f32_f16_e32 v4, v2
	v_cvt_f64_f32_e32 v[2:3], v3
	s_delay_alu instid0(VALU_DEP_2) | instskip(NEXT) | instid1(VALU_DEP_2)
	v_cvt_f64_f32_e32 v[4:5], v4
	v_mul_f64 v[2:3], v[2:3], s[10:11]
	s_delay_alu instid0(VALU_DEP_2) | instskip(NEXT) | instid1(VALU_DEP_2)
	v_mul_f64 v[4:5], v[4:5], s[10:11]
	v_and_or_b32 v2, 0x1ff, v3, v2
	s_delay_alu instid0(VALU_DEP_2)
	v_and_or_b32 v4, 0x1ff, v5, v4
	v_lshrrev_b32_e32 v6, 8, v3
	v_bfe_u32 v8, v3, 20, 11
	v_bfe_u32 v12, v5, 20, 11
	v_cmp_ne_u32_e32 vcc_lo, 0, v2
	v_lshrrev_b32_e32 v7, 8, v5
	v_lshrrev_b32_e32 v5, 16, v5
	v_sub_nc_u32_e32 v15, 0x3f1, v8
	v_sub_nc_u32_e32 v16, 0x3f1, v12
	v_cndmask_b32_e64 v2, 0, 1, vcc_lo
	v_cmp_ne_u32_e32 vcc_lo, 0, v4
	v_add_nc_u32_e32 v12, 0xfffffc10, v12
	s_delay_alu instid0(VALU_DEP_3) | instskip(SKIP_3) | instid1(VALU_DEP_4)
	v_and_or_b32 v17, 0xffe, v6, v2
	v_cndmask_b32_e64 v4, 0, 1, vcc_lo
	v_med3_i32 v2, v15, 0, 13
	v_med3_i32 v15, v16, 0, 13
	v_or_b32_e32 v16, 0x1000, v17
	s_delay_alu instid0(VALU_DEP_4) | instskip(SKIP_1) | instid1(VALU_DEP_3)
	v_and_or_b32 v4, 0xffe, v7, v4
	v_mad_u64_u32 v[6:7], null, s8, v52, 0
	v_lshrrev_b32_e32 v19, v2, v16
	s_delay_alu instid0(VALU_DEP_3) | instskip(NEXT) | instid1(VALU_DEP_2)
	v_or_b32_e32 v18, 0x1000, v4
	v_dual_mov_b32 v2, v7 :: v_dual_lshlrev_b32 v21, v2, v19
	s_delay_alu instid0(VALU_DEP_2) | instskip(NEXT) | instid1(VALU_DEP_2)
	v_lshrrev_b32_e32 v20, v15, v18
	v_cmp_ne_u32_e32 vcc_lo, v21, v16
	s_delay_alu instid0(VALU_DEP_2) | instskip(SKIP_2) | instid1(VALU_DEP_3)
	v_lshlrev_b32_e32 v7, v15, v20
	v_add_nc_u32_e32 v15, 0xfffffc10, v8
	v_cndmask_b32_e64 v16, 0, 1, vcc_lo
	v_cmp_ne_u32_e32 vcc_lo, v7, v18
	v_mad_u64_u32 v[7:8], null, s9, v52, v[2:3]
	s_delay_alu instid0(VALU_DEP_4) | instskip(NEXT) | instid1(VALU_DEP_4)
	v_lshl_or_b32 v2, v15, 12, v17
	v_or_b32_e32 v8, v19, v16
	v_cndmask_b32_e64 v18, 0, 1, vcc_lo
	v_cmp_gt_i32_e32 vcc_lo, 1, v15
	v_lshl_or_b32 v16, v12, 12, v4
	v_lshrrev_b32_e32 v3, 16, v3
	s_delay_alu instid0(VALU_DEP_4) | instskip(SKIP_2) | instid1(VALU_DEP_3)
	v_or_b32_e32 v18, v20, v18
	v_cndmask_b32_e32 v2, v2, v8, vcc_lo
	v_cmp_gt_i32_e32 vcc_lo, 1, v12
	v_cndmask_b32_e32 v8, v16, v18, vcc_lo
	v_cmp_ne_u32_e32 vcc_lo, 0, v17
	s_delay_alu instid0(VALU_DEP_4) | instskip(SKIP_1) | instid1(VALU_DEP_4)
	v_and_b32_e32 v17, 7, v2
	v_lshrrev_b32_e32 v2, 2, v2
	v_and_b32_e32 v18, 7, v8
	v_cndmask_b32_e64 v16, 0, 1, vcc_lo
	v_cmp_ne_u32_e32 vcc_lo, 0, v4
	v_cmp_eq_u32_e64 s0, 3, v17
	v_lshrrev_b32_e32 v8, 2, v8
	v_cmp_lt_i32_e64 s1, 5, v18
	v_cmp_eq_u32_e64 s2, 3, v18
	v_cndmask_b32_e64 v4, 0, 1, vcc_lo
	v_cmp_lt_i32_e32 vcc_lo, 5, v17
	v_lshl_or_b32 v16, v16, 9, 0x7c00
	s_delay_alu instid0(VALU_DEP_3)
	v_lshl_or_b32 v4, v4, 9, 0x7c00
	s_or_b32 vcc_lo, s0, vcc_lo
	v_add_co_ci_u32_e32 v2, vcc_lo, 0, v2, vcc_lo
	s_or_b32 vcc_lo, s2, s1
	v_add_co_ci_u32_e32 v8, vcc_lo, 0, v8, vcc_lo
	v_cmp_gt_i32_e32 vcc_lo, 31, v15
	s_delay_alu instid0(VALU_DEP_3) | instskip(SKIP_1) | instid1(VALU_DEP_4)
	v_cndmask_b32_e32 v2, 0x7c00, v2, vcc_lo
	v_cmp_gt_i32_e32 vcc_lo, 31, v12
	v_cndmask_b32_e32 v8, 0x7c00, v8, vcc_lo
	v_cmp_eq_u32_e32 vcc_lo, 0x40f, v15
	s_delay_alu instid0(VALU_DEP_4) | instskip(SKIP_1) | instid1(VALU_DEP_4)
	v_cndmask_b32_e32 v2, v2, v16, vcc_lo
	v_cmp_eq_u32_e32 vcc_lo, 0x40f, v12
	v_cndmask_b32_e32 v4, v8, v4, vcc_lo
	s_delay_alu instid0(VALU_DEP_3) | instskip(SKIP_1) | instid1(VALU_DEP_3)
	v_and_or_b32 v8, 0x8000, v3, v2
	v_lshlrev_b64 v[2:3], 2, v[6:7]
	v_and_or_b32 v4, 0x8000, v5, v4
	s_delay_alu instid0(VALU_DEP_3) | instskip(NEXT) | instid1(VALU_DEP_3)
	v_and_b32_e32 v5, 0xffff, v8
	v_add_co_u32 v2, vcc_lo, v13, v2
	s_delay_alu instid0(VALU_DEP_4) | instskip(NEXT) | instid1(VALU_DEP_3)
	v_add_co_ci_u32_e32 v3, vcc_lo, v14, v3, vcc_lo
	v_lshl_or_b32 v4, v4, 16, v5
	global_store_b32 v[2:3], v4, off
	global_load_b32 v2, v[22:23], off offset:3752
	s_waitcnt lgkmcnt(2)
	v_lshrrev_b32_e32 v3, 16, v9
	s_waitcnt vmcnt(0)
	v_lshrrev_b32_e32 v4, 16, v2
	s_delay_alu instid0(VALU_DEP_1) | instskip(SKIP_1) | instid1(VALU_DEP_2)
	v_mul_f16_e32 v5, v3, v4
	v_mul_f16_e32 v4, v9, v4
	v_fmac_f16_e32 v5, v9, v2
	s_delay_alu instid0(VALU_DEP_2) | instskip(NEXT) | instid1(VALU_DEP_2)
	v_fma_f16 v2, v2, v3, -v4
	v_cvt_f32_f16_e32 v3, v5
	s_delay_alu instid0(VALU_DEP_2) | instskip(NEXT) | instid1(VALU_DEP_2)
	v_cvt_f32_f16_e32 v4, v2
	v_cvt_f64_f32_e32 v[2:3], v3
	s_delay_alu instid0(VALU_DEP_2) | instskip(NEXT) | instid1(VALU_DEP_2)
	v_cvt_f64_f32_e32 v[4:5], v4
	v_mul_f64 v[2:3], v[2:3], s[10:11]
	s_delay_alu instid0(VALU_DEP_2) | instskip(NEXT) | instid1(VALU_DEP_2)
	v_mul_f64 v[4:5], v[4:5], s[10:11]
	v_and_or_b32 v2, 0x1ff, v3, v2
	s_delay_alu instid0(VALU_DEP_2)
	v_and_or_b32 v4, 0x1ff, v5, v4
	v_lshrrev_b32_e32 v6, 8, v3
	v_bfe_u32 v7, v3, 20, 11
	v_lshrrev_b32_e32 v8, 8, v5
	v_cmp_ne_u32_e32 vcc_lo, 0, v2
	v_bfe_u32 v9, v5, 20, 11
	v_lshrrev_b32_e32 v3, 16, v3
	v_sub_nc_u32_e32 v12, 0x3f1, v7
	v_add_nc_u32_e32 v7, 0xfffffc10, v7
	v_cndmask_b32_e64 v2, 0, 1, vcc_lo
	v_cmp_ne_u32_e32 vcc_lo, 0, v4
	v_lshrrev_b32_e32 v5, 16, v5
	s_delay_alu instid0(VALU_DEP_3) | instskip(SKIP_3) | instid1(VALU_DEP_3)
	v_and_or_b32 v2, 0xffe, v6, v2
	v_cndmask_b32_e64 v4, 0, 1, vcc_lo
	v_sub_nc_u32_e32 v6, 0x3f1, v9
	v_add_nc_u32_e32 v9, 0xfffffc10, v9
	v_and_or_b32 v4, 0xffe, v8, v4
	v_med3_i32 v8, v12, 0, 13
	v_or_b32_e32 v12, 0x1000, v2
	v_med3_i32 v6, v6, 0, 13
	s_delay_alu instid0(VALU_DEP_4) | instskip(NEXT) | instid1(VALU_DEP_3)
	v_or_b32_e32 v13, 0x1000, v4
	v_lshrrev_b32_e32 v14, v8, v12
	s_delay_alu instid0(VALU_DEP_2) | instskip(NEXT) | instid1(VALU_DEP_2)
	v_lshrrev_b32_e32 v15, v6, v13
	v_lshlrev_b32_e32 v8, v8, v14
	s_delay_alu instid0(VALU_DEP_2) | instskip(NEXT) | instid1(VALU_DEP_2)
	v_lshlrev_b32_e32 v6, v6, v15
	v_cmp_ne_u32_e32 vcc_lo, v8, v12
	v_lshl_or_b32 v12, v7, 12, v2
	v_cndmask_b32_e64 v8, 0, 1, vcc_lo
	s_delay_alu instid0(VALU_DEP_4) | instskip(SKIP_1) | instid1(VALU_DEP_3)
	v_cmp_ne_u32_e32 vcc_lo, v6, v13
	v_lshl_or_b32 v13, v9, 12, v4
	v_or_b32_e32 v8, v14, v8
	v_cndmask_b32_e64 v6, 0, 1, vcc_lo
	v_cmp_gt_i32_e32 vcc_lo, 1, v7
	s_delay_alu instid0(VALU_DEP_2) | instskip(NEXT) | instid1(VALU_DEP_4)
	v_or_b32_e32 v6, v15, v6
	v_cndmask_b32_e32 v8, v12, v8, vcc_lo
	v_cmp_gt_i32_e32 vcc_lo, 1, v9
	s_delay_alu instid0(VALU_DEP_2) | instskip(NEXT) | instid1(VALU_DEP_4)
	v_and_b32_e32 v12, 7, v8
	v_cndmask_b32_e32 v6, v13, v6, vcc_lo
	v_cmp_ne_u32_e32 vcc_lo, 0, v2
	v_lshrrev_b32_e32 v8, 2, v8
	s_delay_alu instid0(VALU_DEP_4) | instskip(NEXT) | instid1(VALU_DEP_4)
	v_cmp_eq_u32_e64 s0, 3, v12
	v_and_b32_e32 v13, 7, v6
	v_cndmask_b32_e64 v2, 0, 1, vcc_lo
	v_cmp_ne_u32_e32 vcc_lo, 0, v4
	v_lshrrev_b32_e32 v6, 2, v6
	s_delay_alu instid0(VALU_DEP_4) | instskip(SKIP_4) | instid1(VALU_DEP_3)
	v_cmp_lt_i32_e64 s1, 5, v13
	v_cmp_eq_u32_e64 s2, 3, v13
	v_cndmask_b32_e64 v4, 0, 1, vcc_lo
	v_cmp_lt_i32_e32 vcc_lo, 5, v12
	v_lshl_or_b32 v2, v2, 9, 0x7c00
	v_lshl_or_b32 v4, v4, 9, 0x7c00
	s_or_b32 vcc_lo, s0, vcc_lo
	s_mul_i32 s0, s9, 0xfffff190
	v_add_co_ci_u32_e32 v8, vcc_lo, 0, v8, vcc_lo
	s_or_b32 vcc_lo, s2, s1
	s_sub_i32 s0, s0, s8
	v_add_co_ci_u32_e32 v6, vcc_lo, 0, v6, vcc_lo
	v_cmp_gt_i32_e32 vcc_lo, 31, v7
	v_cndmask_b32_e32 v8, 0x7c00, v8, vcc_lo
	v_cmp_gt_i32_e32 vcc_lo, 31, v9
	s_delay_alu instid0(VALU_DEP_4) | instskip(SKIP_1) | instid1(VALU_DEP_4)
	v_cndmask_b32_e32 v6, 0x7c00, v6, vcc_lo
	v_cmp_eq_u32_e32 vcc_lo, 0x40f, v7
	v_cndmask_b32_e32 v2, v8, v2, vcc_lo
	v_cmp_eq_u32_e32 vcc_lo, 0x40f, v9
	s_delay_alu instid0(VALU_DEP_4) | instskip(NEXT) | instid1(VALU_DEP_3)
	v_cndmask_b32_e32 v4, v6, v4, vcc_lo
	v_and_or_b32 v6, 0x8000, v3, v2
	v_mad_u64_u32 v[2:3], null, 0xfffff190, s8, v[0:1]
	s_delay_alu instid0(VALU_DEP_2) | instskip(NEXT) | instid1(VALU_DEP_2)
	v_and_b32_e32 v1, 0xffff, v6
	v_add_nc_u32_e32 v3, s0, v3
	v_and_or_b32 v0, 0x8000, v5, v4
	s_delay_alu instid0(VALU_DEP_1)
	v_lshl_or_b32 v0, v0, 16, v1
	s_waitcnt lgkmcnt(1)
	v_lshrrev_b32_e32 v1, 16, v10
	global_store_b32 v[2:3], v0, off
	global_load_b32 v0, v[50:51], off offset:1616
	s_waitcnt vmcnt(0)
	v_lshrrev_b32_e32 v4, 16, v0
	s_delay_alu instid0(VALU_DEP_1) | instskip(SKIP_1) | instid1(VALU_DEP_2)
	v_mul_f16_e32 v5, v1, v4
	v_mul_f16_e32 v4, v10, v4
	v_fmac_f16_e32 v5, v10, v0
	s_delay_alu instid0(VALU_DEP_2) | instskip(NEXT) | instid1(VALU_DEP_2)
	v_fma_f16 v0, v0, v1, -v4
	v_cvt_f32_f16_e32 v1, v5
	s_delay_alu instid0(VALU_DEP_2) | instskip(NEXT) | instid1(VALU_DEP_2)
	v_cvt_f32_f16_e32 v4, v0
	v_cvt_f64_f32_e32 v[0:1], v1
	s_delay_alu instid0(VALU_DEP_2) | instskip(NEXT) | instid1(VALU_DEP_2)
	v_cvt_f64_f32_e32 v[4:5], v4
	v_mul_f64 v[0:1], v[0:1], s[10:11]
	s_delay_alu instid0(VALU_DEP_2) | instskip(NEXT) | instid1(VALU_DEP_2)
	v_mul_f64 v[4:5], v[4:5], s[10:11]
	v_and_or_b32 v0, 0x1ff, v1, v0
	s_delay_alu instid0(VALU_DEP_2)
	v_and_or_b32 v4, 0x1ff, v5, v4
	v_lshrrev_b32_e32 v6, 8, v1
	v_bfe_u32 v7, v1, 20, 11
	v_lshrrev_b32_e32 v8, 8, v5
	v_cmp_ne_u32_e32 vcc_lo, 0, v0
	v_bfe_u32 v9, v5, 20, 11
	v_lshrrev_b32_e32 v1, 16, v1
	v_sub_nc_u32_e32 v10, 0x3f1, v7
	v_lshrrev_b32_e32 v5, 16, v5
	v_cndmask_b32_e64 v0, 0, 1, vcc_lo
	v_cmp_ne_u32_e32 vcc_lo, 0, v4
	s_delay_alu instid0(VALU_DEP_2) | instskip(SKIP_2) | instid1(VALU_DEP_2)
	v_and_or_b32 v0, 0xffe, v6, v0
	v_cndmask_b32_e64 v4, 0, 1, vcc_lo
	v_sub_nc_u32_e32 v6, 0x3f1, v9
	v_and_or_b32 v4, 0xffe, v8, v4
	v_med3_i32 v8, v10, 0, 13
	v_or_b32_e32 v10, 0x1000, v0
	s_delay_alu instid0(VALU_DEP_4) | instskip(NEXT) | instid1(VALU_DEP_4)
	v_med3_i32 v6, v6, 0, 13
	v_or_b32_e32 v12, 0x1000, v4
	s_delay_alu instid0(VALU_DEP_3) | instskip(NEXT) | instid1(VALU_DEP_2)
	v_lshrrev_b32_e32 v13, v8, v10
	v_lshrrev_b32_e32 v14, v6, v12
	s_delay_alu instid0(VALU_DEP_2) | instskip(NEXT) | instid1(VALU_DEP_2)
	v_lshlrev_b32_e32 v8, v8, v13
	v_lshlrev_b32_e32 v6, v6, v14
	s_delay_alu instid0(VALU_DEP_2) | instskip(SKIP_1) | instid1(VALU_DEP_3)
	v_cmp_ne_u32_e32 vcc_lo, v8, v10
	v_cndmask_b32_e64 v8, 0, 1, vcc_lo
	v_cmp_ne_u32_e32 vcc_lo, v6, v12
	s_delay_alu instid0(VALU_DEP_2) | instskip(SKIP_2) | instid1(VALU_DEP_2)
	v_or_b32_e32 v8, v13, v8
	v_add_nc_u32_e32 v7, 0xfffffc10, v7
	v_cndmask_b32_e64 v6, 0, 1, vcc_lo
	v_lshl_or_b32 v10, v7, 12, v0
	s_delay_alu instid0(VALU_DEP_2) | instskip(SKIP_2) | instid1(VALU_DEP_2)
	v_or_b32_e32 v6, v14, v6
	v_add_nc_u32_e32 v9, 0xfffffc10, v9
	v_cmp_gt_i32_e32 vcc_lo, 1, v7
	v_lshl_or_b32 v12, v9, 12, v4
	v_cndmask_b32_e32 v8, v10, v8, vcc_lo
	v_cmp_gt_i32_e32 vcc_lo, 1, v9
	s_delay_alu instid0(VALU_DEP_2) | instskip(NEXT) | instid1(VALU_DEP_4)
	v_and_b32_e32 v10, 7, v8
	v_cndmask_b32_e32 v6, v12, v6, vcc_lo
	v_cmp_ne_u32_e32 vcc_lo, 0, v0
	v_lshrrev_b32_e32 v8, 2, v8
	s_delay_alu instid0(VALU_DEP_4) | instskip(NEXT) | instid1(VALU_DEP_4)
	v_cmp_eq_u32_e64 s0, 3, v10
	v_and_b32_e32 v12, 7, v6
	v_cndmask_b32_e64 v0, 0, 1, vcc_lo
	v_cmp_ne_u32_e32 vcc_lo, 0, v4
	v_lshrrev_b32_e32 v6, 2, v6
	s_delay_alu instid0(VALU_DEP_4) | instskip(SKIP_4) | instid1(VALU_DEP_3)
	v_cmp_lt_i32_e64 s1, 5, v12
	v_cmp_eq_u32_e64 s2, 3, v12
	v_cndmask_b32_e64 v4, 0, 1, vcc_lo
	v_cmp_lt_i32_e32 vcc_lo, 5, v10
	v_lshl_or_b32 v0, v0, 9, 0x7c00
	v_lshl_or_b32 v4, v4, 9, 0x7c00
	s_or_b32 vcc_lo, s0, vcc_lo
	v_add_co_ci_u32_e32 v8, vcc_lo, 0, v8, vcc_lo
	s_or_b32 vcc_lo, s2, s1
	v_add_co_ci_u32_e32 v6, vcc_lo, 0, v6, vcc_lo
	v_cmp_gt_i32_e32 vcc_lo, 31, v7
	s_delay_alu instid0(VALU_DEP_3) | instskip(SKIP_1) | instid1(VALU_DEP_4)
	v_cndmask_b32_e32 v8, 0x7c00, v8, vcc_lo
	v_cmp_gt_i32_e32 vcc_lo, 31, v9
	v_cndmask_b32_e32 v6, 0x7c00, v6, vcc_lo
	v_cmp_eq_u32_e32 vcc_lo, 0x40f, v7
	s_delay_alu instid0(VALU_DEP_4) | instskip(SKIP_1) | instid1(VALU_DEP_2)
	v_cndmask_b32_e32 v0, v8, v0, vcc_lo
	v_cmp_eq_u32_e32 vcc_lo, 0x40f, v9
	v_and_or_b32 v0, 0x8000, v1, v0
	v_cndmask_b32_e32 v4, v6, v4, vcc_lo
	s_delay_alu instid0(VALU_DEP_1) | instskip(NEXT) | instid1(VALU_DEP_3)
	v_and_or_b32 v4, 0x8000, v5, v4
	v_and_b32_e32 v5, 0xffff, v0
	v_add_co_u32 v0, vcc_lo, v2, s12
	v_add_co_ci_u32_e32 v1, vcc_lo, s13, v3, vcc_lo
	s_delay_alu instid0(VALU_DEP_3)
	v_lshl_or_b32 v2, v4, 16, v5
	s_waitcnt lgkmcnt(0)
	v_lshrrev_b32_e32 v3, 16, v11
	global_store_b32 v[0:1], v2, off
	global_load_b32 v2, v[50:51], off offset:3576
	s_waitcnt vmcnt(0)
	v_lshrrev_b32_e32 v4, 16, v2
	s_delay_alu instid0(VALU_DEP_1) | instskip(SKIP_1) | instid1(VALU_DEP_2)
	v_mul_f16_e32 v5, v3, v4
	v_mul_f16_e32 v4, v11, v4
	v_fmac_f16_e32 v5, v11, v2
	s_delay_alu instid0(VALU_DEP_2) | instskip(NEXT) | instid1(VALU_DEP_2)
	v_fma_f16 v2, v2, v3, -v4
	v_cvt_f32_f16_e32 v3, v5
	s_delay_alu instid0(VALU_DEP_2) | instskip(NEXT) | instid1(VALU_DEP_2)
	v_cvt_f32_f16_e32 v4, v2
	v_cvt_f64_f32_e32 v[2:3], v3
	s_delay_alu instid0(VALU_DEP_2) | instskip(NEXT) | instid1(VALU_DEP_2)
	v_cvt_f64_f32_e32 v[4:5], v4
	v_mul_f64 v[2:3], v[2:3], s[10:11]
	s_delay_alu instid0(VALU_DEP_2) | instskip(NEXT) | instid1(VALU_DEP_2)
	v_mul_f64 v[4:5], v[4:5], s[10:11]
	v_and_or_b32 v2, 0x1ff, v3, v2
	s_delay_alu instid0(VALU_DEP_2)
	v_and_or_b32 v4, 0x1ff, v5, v4
	v_lshrrev_b32_e32 v6, 8, v3
	v_bfe_u32 v7, v3, 20, 11
	v_lshrrev_b32_e32 v8, 8, v5
	v_cmp_ne_u32_e32 vcc_lo, 0, v2
	v_bfe_u32 v9, v5, 20, 11
	v_lshrrev_b32_e32 v3, 16, v3
	v_sub_nc_u32_e32 v10, 0x3f1, v7
	v_add_nc_u32_e32 v7, 0xfffffc10, v7
	v_cndmask_b32_e64 v2, 0, 1, vcc_lo
	v_cmp_ne_u32_e32 vcc_lo, 0, v4
	v_lshrrev_b32_e32 v5, 16, v5
	s_delay_alu instid0(VALU_DEP_3) | instskip(SKIP_3) | instid1(VALU_DEP_3)
	v_and_or_b32 v2, 0xffe, v6, v2
	v_cndmask_b32_e64 v4, 0, 1, vcc_lo
	v_sub_nc_u32_e32 v6, 0x3f1, v9
	v_add_nc_u32_e32 v9, 0xfffffc10, v9
	v_and_or_b32 v4, 0xffe, v8, v4
	v_med3_i32 v8, v10, 0, 13
	v_or_b32_e32 v10, 0x1000, v2
	v_med3_i32 v6, v6, 0, 13
	s_delay_alu instid0(VALU_DEP_4) | instskip(NEXT) | instid1(VALU_DEP_3)
	v_or_b32_e32 v11, 0x1000, v4
	v_lshrrev_b32_e32 v12, v8, v10
	s_delay_alu instid0(VALU_DEP_2) | instskip(NEXT) | instid1(VALU_DEP_2)
	v_lshrrev_b32_e32 v13, v6, v11
	v_lshlrev_b32_e32 v8, v8, v12
	s_delay_alu instid0(VALU_DEP_2) | instskip(NEXT) | instid1(VALU_DEP_2)
	v_lshlrev_b32_e32 v6, v6, v13
	v_cmp_ne_u32_e32 vcc_lo, v8, v10
	v_lshl_or_b32 v10, v7, 12, v2
	v_cndmask_b32_e64 v8, 0, 1, vcc_lo
	s_delay_alu instid0(VALU_DEP_4) | instskip(SKIP_1) | instid1(VALU_DEP_3)
	v_cmp_ne_u32_e32 vcc_lo, v6, v11
	v_lshl_or_b32 v11, v9, 12, v4
	v_or_b32_e32 v8, v12, v8
	v_cndmask_b32_e64 v6, 0, 1, vcc_lo
	v_cmp_gt_i32_e32 vcc_lo, 1, v7
	s_delay_alu instid0(VALU_DEP_2) | instskip(NEXT) | instid1(VALU_DEP_4)
	v_or_b32_e32 v6, v13, v6
	v_cndmask_b32_e32 v8, v10, v8, vcc_lo
	v_cmp_gt_i32_e32 vcc_lo, 1, v9
	s_delay_alu instid0(VALU_DEP_2) | instskip(NEXT) | instid1(VALU_DEP_4)
	v_and_b32_e32 v10, 7, v8
	v_cndmask_b32_e32 v6, v11, v6, vcc_lo
	v_cmp_ne_u32_e32 vcc_lo, 0, v2
	v_lshrrev_b32_e32 v8, 2, v8
	s_delay_alu instid0(VALU_DEP_4) | instskip(NEXT) | instid1(VALU_DEP_4)
	v_cmp_eq_u32_e64 s0, 3, v10
	v_and_b32_e32 v11, 7, v6
	v_cndmask_b32_e64 v2, 0, 1, vcc_lo
	v_cmp_ne_u32_e32 vcc_lo, 0, v4
	v_lshrrev_b32_e32 v6, 2, v6
	s_delay_alu instid0(VALU_DEP_4) | instskip(SKIP_4) | instid1(VALU_DEP_3)
	v_cmp_lt_i32_e64 s1, 5, v11
	v_cmp_eq_u32_e64 s2, 3, v11
	v_cndmask_b32_e64 v4, 0, 1, vcc_lo
	v_cmp_lt_i32_e32 vcc_lo, 5, v10
	v_lshl_or_b32 v2, v2, 9, 0x7c00
	v_lshl_or_b32 v4, v4, 9, 0x7c00
	s_or_b32 vcc_lo, s0, vcc_lo
	v_add_co_ci_u32_e32 v8, vcc_lo, 0, v8, vcc_lo
	s_or_b32 vcc_lo, s2, s1
	v_add_co_ci_u32_e32 v6, vcc_lo, 0, v6, vcc_lo
	v_cmp_gt_i32_e32 vcc_lo, 31, v7
	s_delay_alu instid0(VALU_DEP_3) | instskip(SKIP_1) | instid1(VALU_DEP_4)
	v_cndmask_b32_e32 v8, 0x7c00, v8, vcc_lo
	v_cmp_gt_i32_e32 vcc_lo, 31, v9
	v_cndmask_b32_e32 v6, 0x7c00, v6, vcc_lo
	v_cmp_eq_u32_e32 vcc_lo, 0x40f, v7
	s_delay_alu instid0(VALU_DEP_4) | instskip(SKIP_1) | instid1(VALU_DEP_2)
	v_cndmask_b32_e32 v2, v8, v2, vcc_lo
	v_cmp_eq_u32_e32 vcc_lo, 0x40f, v9
	v_and_or_b32 v2, 0x8000, v3, v2
	v_cndmask_b32_e32 v4, v6, v4, vcc_lo
	v_add_co_u32 v0, vcc_lo, v0, s12
	v_add_co_ci_u32_e32 v1, vcc_lo, s13, v1, vcc_lo
	s_delay_alu instid0(VALU_DEP_3) | instskip(SKIP_1) | instid1(VALU_DEP_1)
	v_and_or_b32 v3, 0x8000, v5, v4
	v_and_b32_e32 v2, 0xffff, v2
	v_lshl_or_b32 v2, v3, 16, v2
	global_store_b32 v[0:1], v2, off
.LBB0_25:
	s_nop 0
	s_sendmsg sendmsg(MSG_DEALLOC_VGPRS)
	s_endpgm
	.section	.rodata,"a",@progbits
	.p2align	6, 0x0
	.amdhsa_kernel bluestein_single_back_len1960_dim1_half_op_CI_CI
		.amdhsa_group_segment_fixed_size 7840
		.amdhsa_private_segment_fixed_size 212
		.amdhsa_kernarg_size 104
		.amdhsa_user_sgpr_count 15
		.amdhsa_user_sgpr_dispatch_ptr 0
		.amdhsa_user_sgpr_queue_ptr 0
		.amdhsa_user_sgpr_kernarg_segment_ptr 1
		.amdhsa_user_sgpr_dispatch_id 0
		.amdhsa_user_sgpr_private_segment_size 0
		.amdhsa_wavefront_size32 1
		.amdhsa_uses_dynamic_stack 0
		.amdhsa_enable_private_segment 1
		.amdhsa_system_sgpr_workgroup_id_x 1
		.amdhsa_system_sgpr_workgroup_id_y 0
		.amdhsa_system_sgpr_workgroup_id_z 0
		.amdhsa_system_sgpr_workgroup_info 0
		.amdhsa_system_vgpr_workitem_id 0
		.amdhsa_next_free_vgpr 256
		.amdhsa_next_free_sgpr 20
		.amdhsa_reserve_vcc 1
		.amdhsa_float_round_mode_32 0
		.amdhsa_float_round_mode_16_64 0
		.amdhsa_float_denorm_mode_32 3
		.amdhsa_float_denorm_mode_16_64 3
		.amdhsa_dx10_clamp 1
		.amdhsa_ieee_mode 1
		.amdhsa_fp16_overflow 0
		.amdhsa_workgroup_processor_mode 1
		.amdhsa_memory_ordered 1
		.amdhsa_forward_progress 0
		.amdhsa_shared_vgpr_count 0
		.amdhsa_exception_fp_ieee_invalid_op 0
		.amdhsa_exception_fp_denorm_src 0
		.amdhsa_exception_fp_ieee_div_zero 0
		.amdhsa_exception_fp_ieee_overflow 0
		.amdhsa_exception_fp_ieee_underflow 0
		.amdhsa_exception_fp_ieee_inexact 0
		.amdhsa_exception_int_div_zero 0
	.end_amdhsa_kernel
	.text
.Lfunc_end0:
	.size	bluestein_single_back_len1960_dim1_half_op_CI_CI, .Lfunc_end0-bluestein_single_back_len1960_dim1_half_op_CI_CI
                                        ; -- End function
	.section	.AMDGPU.csdata,"",@progbits
; Kernel info:
; codeLenInByte = 68420
; NumSgprs: 22
; NumVgprs: 256
; ScratchSize: 212
; MemoryBound: 0
; FloatMode: 240
; IeeeMode: 1
; LDSByteSize: 7840 bytes/workgroup (compile time only)
; SGPRBlocks: 2
; VGPRBlocks: 31
; NumSGPRsForWavesPerEU: 22
; NumVGPRsForWavesPerEU: 256
; Occupancy: 5
; WaveLimiterHint : 1
; COMPUTE_PGM_RSRC2:SCRATCH_EN: 1
; COMPUTE_PGM_RSRC2:USER_SGPR: 15
; COMPUTE_PGM_RSRC2:TRAP_HANDLER: 0
; COMPUTE_PGM_RSRC2:TGID_X_EN: 1
; COMPUTE_PGM_RSRC2:TGID_Y_EN: 0
; COMPUTE_PGM_RSRC2:TGID_Z_EN: 0
; COMPUTE_PGM_RSRC2:TIDIG_COMP_CNT: 0
	.text
	.p2alignl 7, 3214868480
	.fill 96, 4, 3214868480
	.type	__hip_cuid_f8afe5e428156e37,@object ; @__hip_cuid_f8afe5e428156e37
	.section	.bss,"aw",@nobits
	.globl	__hip_cuid_f8afe5e428156e37
__hip_cuid_f8afe5e428156e37:
	.byte	0                               ; 0x0
	.size	__hip_cuid_f8afe5e428156e37, 1

	.ident	"AMD clang version 19.0.0git (https://github.com/RadeonOpenCompute/llvm-project roc-6.4.0 25133 c7fe45cf4b819c5991fe208aaa96edf142730f1d)"
	.section	".note.GNU-stack","",@progbits
	.addrsig
	.addrsig_sym __hip_cuid_f8afe5e428156e37
	.amdgpu_metadata
---
amdhsa.kernels:
  - .args:
      - .actual_access:  read_only
        .address_space:  global
        .offset:         0
        .size:           8
        .value_kind:     global_buffer
      - .actual_access:  read_only
        .address_space:  global
        .offset:         8
        .size:           8
        .value_kind:     global_buffer
      - .actual_access:  read_only
        .address_space:  global
        .offset:         16
        .size:           8
        .value_kind:     global_buffer
      - .actual_access:  read_only
        .address_space:  global
        .offset:         24
        .size:           8
        .value_kind:     global_buffer
      - .actual_access:  read_only
        .address_space:  global
        .offset:         32
        .size:           8
        .value_kind:     global_buffer
      - .offset:         40
        .size:           8
        .value_kind:     by_value
      - .address_space:  global
        .offset:         48
        .size:           8
        .value_kind:     global_buffer
      - .address_space:  global
        .offset:         56
        .size:           8
        .value_kind:     global_buffer
      - .address_space:  global
        .offset:         64
        .size:           8
        .value_kind:     global_buffer
      - .address_space:  global
        .offset:         72
        .size:           8
        .value_kind:     global_buffer
      - .offset:         80
        .size:           4
        .value_kind:     by_value
      - .address_space:  global
        .offset:         88
        .size:           8
        .value_kind:     global_buffer
      - .address_space:  global
        .offset:         96
        .size:           8
        .value_kind:     global_buffer
    .group_segment_fixed_size: 7840
    .kernarg_segment_align: 8
    .kernarg_segment_size: 104
    .language:       OpenCL C
    .language_version:
      - 2
      - 0
    .max_flat_workgroup_size: 56
    .name:           bluestein_single_back_len1960_dim1_half_op_CI_CI
    .private_segment_fixed_size: 212
    .sgpr_count:     22
    .sgpr_spill_count: 0
    .symbol:         bluestein_single_back_len1960_dim1_half_op_CI_CI.kd
    .uniform_work_group_size: 1
    .uses_dynamic_stack: false
    .vgpr_count:     256
    .vgpr_spill_count: 52
    .wavefront_size: 32
    .workgroup_processor_mode: 1
amdhsa.target:   amdgcn-amd-amdhsa--gfx1100
amdhsa.version:
  - 1
  - 2
...

	.end_amdgpu_metadata
